;; amdgpu-corpus repo=ROCm/rocFFT kind=compiled arch=gfx1201 opt=O3
	.text
	.amdgcn_target "amdgcn-amd-amdhsa--gfx1201"
	.amdhsa_code_object_version 6
	.protected	bluestein_single_back_len918_dim1_half_op_CI_CI ; -- Begin function bluestein_single_back_len918_dim1_half_op_CI_CI
	.globl	bluestein_single_back_len918_dim1_half_op_CI_CI
	.p2align	8
	.type	bluestein_single_back_len918_dim1_half_op_CI_CI,@function
bluestein_single_back_len918_dim1_half_op_CI_CI: ; @bluestein_single_back_len918_dim1_half_op_CI_CI
; %bb.0:
	s_load_b128 s[8:11], s[0:1], 0x28
	v_mul_u32_u24_e32 v1, 0x283, v0
	s_mov_b32 s2, exec_lo
	v_mov_b32_e32 v9, 0
	s_delay_alu instid0(VALU_DEP_2) | instskip(NEXT) | instid1(VALU_DEP_1)
	v_lshrrev_b32_e32 v1, 16, v1
	v_add_nc_u32_e32 v8, ttmp9, v1
	s_wait_kmcnt 0x0
	s_delay_alu instid0(VALU_DEP_1)
	v_cmpx_gt_u64_e64 s[8:9], v[8:9]
	s_cbranch_execz .LBB0_23
; %bb.1:
	s_clause 0x1
	s_load_b64 s[8:9], s[0:1], 0x0
	s_load_b64 s[12:13], s[0:1], 0x38
	v_mul_lo_u16 v1, 0x66, v1
	s_delay_alu instid0(VALU_DEP_1) | instskip(NEXT) | instid1(VALU_DEP_1)
	v_sub_nc_u16 v0, v0, v1
	v_and_b32_e32 v33, 0xffff, v0
	v_cmp_gt_u16_e32 vcc_lo, 54, v0
	s_delay_alu instid0(VALU_DEP_2)
	v_lshlrev_b32_e32 v32, 2, v33
	s_and_saveexec_b32 s3, vcc_lo
	s_cbranch_execz .LBB0_3
; %bb.2:
	s_load_b64 s[4:5], s[0:1], 0x18
	s_wait_kmcnt 0x0
	s_load_b128 s[4:7], s[4:5], 0x0
	s_wait_kmcnt 0x0
	v_mad_co_u64_u32 v[0:1], null, s6, v8, 0
	v_mad_co_u64_u32 v[2:3], null, s4, v33, 0
	s_delay_alu instid0(VALU_DEP_1) | instskip(NEXT) | instid1(VALU_DEP_1)
	v_mad_co_u64_u32 v[4:5], null, s7, v8, v[1:2]
	v_mad_co_u64_u32 v[5:6], null, s5, v33, v[3:4]
	v_mov_b32_e32 v1, v4
	s_mul_u64 s[4:5], s[4:5], 0xd8
	s_clause 0x7
	global_load_b32 v6, v32, s[8:9]
	global_load_b32 v7, v32, s[8:9] offset:216
	global_load_b32 v9, v32, s[8:9] offset:432
	;; [unrolled: 1-line block ×7, first 2 shown]
	v_lshlrev_b64_e32 v[0:1], 2, v[0:1]
	v_mov_b32_e32 v3, v5
	s_delay_alu instid0(VALU_DEP_2) | instskip(NEXT) | instid1(VALU_DEP_2)
	v_add_co_u32 v0, s2, s10, v0
	v_lshlrev_b64_e32 v[2:3], 2, v[2:3]
	s_delay_alu instid0(VALU_DEP_4) | instskip(NEXT) | instid1(VALU_DEP_2)
	v_add_co_ci_u32_e64 v1, s2, s11, v1, s2
	v_add_co_u32 v0, s2, v0, v2
	s_wait_alu 0xf1ff
	s_delay_alu instid0(VALU_DEP_2)
	v_add_co_ci_u32_e64 v1, s2, v1, v3, s2
	global_load_b32 v15, v[0:1], off
	s_wait_alu 0xfffe
	v_add_co_u32 v0, s2, v0, s4
	s_wait_alu 0xf1ff
	v_add_co_ci_u32_e64 v1, s2, s5, v1, s2
	s_clause 0x7
	global_load_b32 v16, v32, s[8:9] offset:1728
	global_load_b32 v17, v32, s[8:9] offset:1944
	;; [unrolled: 1-line block ×8, first 2 shown]
	global_load_b32 v24, v[0:1], off
	v_add_co_u32 v0, s2, v0, s4
	s_wait_alu 0xf1ff
	v_add_co_ci_u32_e64 v1, s2, s5, v1, s2
	global_load_b32 v25, v32, s[8:9] offset:3456
	v_add_co_u32 v2, s2, v0, s4
	s_wait_alu 0xf1ff
	v_add_co_ci_u32_e64 v3, s2, s5, v1, s2
	global_load_b32 v26, v[0:1], off
	v_add_co_u32 v0, s2, v2, s4
	s_wait_alu 0xf1ff
	v_add_co_ci_u32_e64 v1, s2, s5, v3, s2
	s_clause 0x1
	global_load_b32 v27, v[2:3], off
	global_load_b32 v28, v[0:1], off
	v_add_co_u32 v0, s2, v0, s4
	s_wait_alu 0xf1ff
	v_add_co_ci_u32_e64 v1, s2, s5, v1, s2
	s_delay_alu instid0(VALU_DEP_2) | instskip(SKIP_1) | instid1(VALU_DEP_2)
	v_add_co_u32 v2, s2, v0, s4
	s_wait_alu 0xf1ff
	v_add_co_ci_u32_e64 v3, s2, s5, v1, s2
	global_load_b32 v29, v[0:1], off
	v_add_co_u32 v0, s2, v2, s4
	s_wait_alu 0xf1ff
	v_add_co_ci_u32_e64 v1, s2, s5, v3, s2
	global_load_b32 v30, v[2:3], off
	global_load_b32 v31, v[0:1], off
	v_add_co_u32 v0, s2, v0, s4
	s_wait_alu 0xf1ff
	v_add_co_ci_u32_e64 v1, s2, s5, v1, s2
	s_delay_alu instid0(VALU_DEP_2) | instskip(SKIP_1) | instid1(VALU_DEP_2)
	v_add_co_u32 v2, s2, v0, s4
	s_wait_alu 0xf1ff
	v_add_co_ci_u32_e64 v3, s2, s5, v1, s2
	global_load_b32 v34, v[0:1], off
	global_load_b32 v35, v[2:3], off
	v_add_co_u32 v0, s2, v2, s4
	s_wait_alu 0xf1ff
	v_add_co_ci_u32_e64 v1, s2, s5, v3, s2
	s_delay_alu instid0(VALU_DEP_2) | instskip(SKIP_1) | instid1(VALU_DEP_2)
	v_add_co_u32 v2, s2, v0, s4
	s_wait_alu 0xf1ff
	v_add_co_ci_u32_e64 v3, s2, s5, v1, s2
	global_load_b32 v36, v[0:1], off
	v_add_co_u32 v0, s2, v2, s4
	s_wait_alu 0xf1ff
	v_add_co_ci_u32_e64 v1, s2, s5, v3, s2
	global_load_b32 v37, v[2:3], off
	;; [unrolled: 4-line block ×4, first 2 shown]
	v_add_co_u32 v2, s2, v0, s4
	s_wait_alu 0xf1ff
	v_add_co_ci_u32_e64 v3, s2, s5, v1, s2
	s_delay_alu instid0(VALU_DEP_2) | instskip(SKIP_1) | instid1(VALU_DEP_2)
	v_add_co_u32 v4, s2, v2, s4
	s_wait_alu 0xf1ff
	v_add_co_ci_u32_e64 v5, s2, s5, v3, s2
	global_load_b32 v0, v[0:1], off
	global_load_b32 v1, v[2:3], off
	;; [unrolled: 1-line block ×3, first 2 shown]
	v_add_nc_u32_e32 v3, 0x200, v32
	v_add_nc_u32_e32 v4, 0x400, v32
	;; [unrolled: 1-line block ×3, first 2 shown]
	s_wait_loadcnt 0x21
	v_lshrrev_b32_e32 v40, 16, v6
	s_wait_loadcnt 0x20
	v_lshrrev_b32_e32 v41, 16, v7
	;; [unrolled: 2-line block ×11, first 2 shown]
	v_lshrrev_b32_e32 v53, 16, v15
	v_mul_f16_e32 v57, v40, v15
	s_wait_loadcnt 0x15
	v_lshrrev_b32_e32 v51, 16, v19
	s_wait_loadcnt 0x14
	v_lshrrev_b32_e32 v52, 16, v20
	;; [unrolled: 2-line block ×3, first 2 shown]
	v_mul_f16_e32 v40, v40, v53
	s_wait_loadcnt 0x10
	v_lshrrev_b32_e32 v58, 16, v24
	v_mul_f16_e32 v60, v41, v24
	v_fma_f16 v53, v6, v53, -v57
	v_lshrrev_b32_e32 v55, 16, v22
	v_fmac_f16_e32 v40, v6, v15
	v_mul_f16_e32 v6, v41, v58
	v_fma_f16 v41, v7, v58, -v60
	v_lshrrev_b32_e32 v56, 16, v23
	s_wait_loadcnt 0xf
	v_lshrrev_b32_e32 v59, 16, v25
	s_wait_loadcnt 0xe
	v_lshrrev_b32_e32 v15, 16, v26
	v_mul_f16_e32 v57, v42, v26
	v_fmac_f16_e32 v6, v7, v24
	v_pack_b32_f16 v40, v40, v53
	s_delay_alu instid0(VALU_DEP_4)
	v_mul_f16_e32 v7, v42, v15
	s_wait_loadcnt 0xd
	v_lshrrev_b32_e32 v24, 16, v27
	v_mul_f16_e32 v42, v43, v27
	v_fma_f16 v15, v9, v15, -v57
	v_pack_b32_f16 v6, v6, v41
	v_fmac_f16_e32 v7, v9, v26
	v_mul_f16_e32 v9, v43, v24
	s_wait_loadcnt 0xc
	v_lshrrev_b32_e32 v26, 16, v28
	v_fma_f16 v24, v10, v24, -v42
	v_mul_f16_e32 v41, v44, v28
	ds_store_2addr_b32 v32, v40, v6 offset1:54
	v_pack_b32_f16 v6, v7, v15
	v_fmac_f16_e32 v9, v10, v27
	v_mul_f16_e32 v7, v44, v26
	s_wait_loadcnt 0xb
	v_lshrrev_b32_e32 v10, 16, v29
	v_mul_f16_e32 v15, v45, v29
	v_fma_f16 v26, v11, v26, -v41
	v_pack_b32_f16 v9, v9, v24
	v_fmac_f16_e32 v7, v11, v28
	v_mul_f16_e32 v11, v45, v10
	v_fma_f16 v10, v12, v10, -v15
	s_wait_loadcnt 0xa
	v_lshrrev_b32_e32 v15, 16, v30
	v_mul_f16_e32 v24, v46, v30
	ds_store_2addr_b32 v32, v6, v9 offset0:108 offset1:162
	v_pack_b32_f16 v6, v7, v26
	v_fmac_f16_e32 v11, v12, v29
	v_mul_f16_e32 v7, v46, v15
	s_wait_loadcnt 0x9
	v_lshrrev_b32_e32 v9, 16, v31
	v_mul_f16_e32 v12, v47, v31
	v_fma_f16 v15, v13, v15, -v24
	v_pack_b32_f16 v10, v11, v10
	v_fmac_f16_e32 v7, v13, v30
	v_mul_f16_e32 v11, v47, v9
	v_fma_f16 v9, v14, v9, -v12
	s_wait_loadcnt 0x8
	v_lshrrev_b32_e32 v12, 16, v34
	v_mul_f16_e32 v13, v48, v34
	ds_store_2addr_b32 v3, v6, v10 offset0:88 offset1:142
	;; [unrolled: 15-line block ×3, first 2 shown]
	v_pack_b32_f16 v3, v6, v12
	v_fmac_f16_e32 v11, v17, v35
	v_mul_f16_e32 v6, v50, v10
	s_wait_loadcnt 0x5
	v_lshrrev_b32_e32 v9, 16, v37
	v_fma_f16 v10, v18, v10, -v13
	v_mul_f16_e32 v12, v51, v37
	s_wait_loadcnt 0x4
	v_lshrrev_b32_e32 v13, 16, v38
	v_fmac_f16_e32 v6, v18, v36
	v_pack_b32_f16 v7, v11, v7
	v_mul_f16_e32 v11, v51, v9
	v_fma_f16 v9, v19, v9, -v12
	v_mul_f16_e32 v12, v52, v38
	v_pack_b32_f16 v6, v6, v10
	v_mul_f16_e32 v10, v52, v13
	v_fmac_f16_e32 v11, v19, v37
	s_wait_loadcnt 0x3
	v_lshrrev_b32_e32 v14, 16, v39
	v_mul_f16_e32 v15, v54, v39
	v_fma_f16 v12, v20, v13, -v12
	v_fmac_f16_e32 v10, v20, v38
	v_pack_b32_f16 v9, v11, v9
	v_mul_f16_e32 v11, v54, v14
	v_fma_f16 v13, v21, v14, -v15
	s_wait_loadcnt 0x2
	v_lshrrev_b32_e32 v14, 16, v0
	v_mul_f16_e32 v15, v55, v0
	v_pack_b32_f16 v10, v10, v12
	s_wait_loadcnt 0x1
	v_lshrrev_b32_e32 v12, 16, v1
	s_wait_loadcnt 0x0
	v_lshrrev_b32_e32 v16, 16, v2
	v_mul_f16_e32 v17, v55, v14
	v_fma_f16 v14, v22, v14, -v15
	v_mul_f16_e32 v15, v56, v1
	v_mul_f16_e32 v18, v56, v12
	;; [unrolled: 1-line block ×4, first 2 shown]
	v_fmac_f16_e32 v11, v21, v39
	v_fmac_f16_e32 v17, v22, v0
	v_fma_f16 v0, v23, v12, -v15
	v_add_nc_u32_e32 v12, 0xa00, v32
	v_fmac_f16_e32 v18, v23, v1
	v_fmac_f16_e32 v19, v25, v2
	v_fma_f16 v1, v25, v16, -v20
	v_pack_b32_f16 v2, v11, v13
	v_pack_b32_f16 v11, v17, v14
	;; [unrolled: 1-line block ×3, first 2 shown]
	s_delay_alu instid0(VALU_DEP_4)
	v_pack_b32_f16 v1, v19, v1
	ds_store_2addr_b32 v4, v3, v7 offset0:176 offset1:230
	ds_store_2addr_b32 v5, v6, v9 offset0:28 offset1:82
	;; [unrolled: 1-line block ×4, first 2 shown]
	ds_store_b32 v32, v1 offset:3456
.LBB0_3:
	s_or_b32 exec_lo, exec_lo, s3
	s_clause 0x1
	s_load_b64 s[4:5], s[0:1], 0x20
	s_load_b64 s[2:3], s[0:1], 0x8
	v_mov_b32_e32 v4, 0
	global_wb scope:SCOPE_SE
	s_wait_dscnt 0x0
	s_wait_kmcnt 0x0
	s_barrier_signal -1
	s_barrier_wait -1
	global_inv scope:SCOPE_SE
                                        ; implicit-def: $vgpr23
                                        ; implicit-def: $vgpr1
                                        ; implicit-def: $vgpr3
                                        ; implicit-def: $vgpr7
                                        ; implicit-def: $vgpr16
                                        ; implicit-def: $vgpr18
                                        ; implicit-def: $vgpr20
                                        ; implicit-def: $vgpr22
                                        ; implicit-def: $vgpr56
	s_and_saveexec_b32 s0, vcc_lo
	s_cbranch_execz .LBB0_5
; %bb.4:
	v_add_nc_u32_e32 v0, 0x200, v32
	v_add_nc_u32_e32 v1, 0x400, v32
	;; [unrolled: 1-line block ×3, first 2 shown]
	ds_load_2addr_b32 v[21:22], v32 offset0:108 offset1:162
	ds_load_2addr_b32 v[4:5], v32 offset1:54
	ds_load_2addr_b32 v[19:20], v0 offset0:88 offset1:142
	v_add_nc_u32_e32 v0, 0xa00, v32
	ds_load_2addr_b32 v[17:18], v1 offset0:68 offset1:122
	ds_load_2addr_b32 v[15:16], v1 offset0:176 offset1:230
	ds_load_2addr_b32 v[6:7], v2 offset0:28 offset1:82
	ds_load_2addr_b32 v[2:3], v2 offset0:136 offset1:190
	ds_load_2addr_b32 v[0:1], v0 offset0:116 offset1:170
	ds_load_b32 v23, v32 offset:3456
	s_wait_dscnt 0x8
	v_alignbit_b32 v56, v21, v21, 16
.LBB0_5:
	s_wait_alu 0xfffe
	s_or_b32 exec_lo, exec_lo, s0
	s_wait_dscnt 0x0
	v_pk_add_f16 v31, v5, v23 neg_lo:[0,1] neg_hi:[0,1]
	v_pk_add_f16 v35, v56, v1 op_sel:[1,0] op_sel_hi:[0,1] neg_lo:[0,1] neg_hi:[0,1]
	v_pk_add_f16 v63, v23, v5
	v_pk_add_f16 v61, v1, v56 op_sel:[1,0] op_sel_hi:[0,1]
	v_pk_add_f16 v36, v22, v0 neg_lo:[0,1] neg_hi:[0,1]
	v_lshrrev_b32_e32 v40, 16, v31
	v_lshrrev_b32_e32 v39, 16, v35
	v_pk_add_f16 v38, v19, v3 neg_lo:[0,1] neg_hi:[0,1]
	v_lshrrev_b32_e32 v62, 16, v61
	v_lshrrev_b32_e32 v86, 16, v36
	v_mul_f16_e32 v26, 0xbb29, v40
	v_mul_f16_e32 v29, 0xbbf7, v40
	;; [unrolled: 1-line block ×5, first 2 shown]
	v_fmamk_f16 v9, v63, 0x3722, v26
	v_fmamk_f16 v10, v63, 0x2de8, v29
	;; [unrolled: 1-line block ×3, first 2 shown]
	v_mul_f16_e32 v48, 0x3836, v39
	v_pk_add_f16 v66, v0, v22
	v_add_f16_e32 v9, v9, v4
	v_fmamk_f16 v12, v62, 0xb8d2, v27
	v_mul_f16_e32 v44, 0x31e1, v86
	v_lshrrev_b32_e32 v91, 16, v38
	v_add_f16_e32 v10, v10, v4
	v_add_f16_e32 v11, v11, v4
	v_fmamk_f16 v13, v62, 0xbbdd, v43
	v_fmamk_f16 v14, v62, 0xbacd, v48
	v_add_f16_e32 v9, v12, v9
	v_mul_f16_e32 v49, 0x3bb2, v86
	v_mul_f16_e32 v54, 0x3964, v86
	v_pk_add_f16 v68, v3, v19
	v_fmamk_f16 v12, v66, 0xbbdd, v44
	v_mul_f16_e32 v46, 0x3bb2, v91
	v_pk_add_f16 v42, v20, v2 neg_lo:[0,1] neg_hi:[0,1]
	v_add_f16_e32 v10, v13, v10
	v_add_f16_e32 v11, v14, v11
	v_fmamk_f16 v13, v66, 0xb461, v49
	v_fmamk_f16 v14, v66, 0x39e9, v54
	v_add_f16_e32 v9, v12, v9
	v_fmamk_f16 v12, v68, 0xb461, v46
	v_mul_f16_e32 v51, 0x35c8, v91
	v_mul_f16_e32 v60, 0xbb29, v91
	v_lshrrev_b32_e32 v99, 16, v42
	v_pk_mul_f16 v34, 0x3b7639e9, v63
	v_add_f16_e32 v10, v13, v10
	v_add_f16_e32 v11, v14, v11
	v_pk_add_f16 v69, v2, v20
	v_add_f16_e32 v9, v12, v9
	v_fmamk_f16 v12, v68, 0x3b76, v51
	v_fmamk_f16 v13, v68, 0x3722, v60
	v_mul_f16_e32 v50, 0x3964, v99
	v_mul_f16_e32 v59, 0xbb29, v99
	v_pk_mul_f16 v30, 0xbbf7b964, v35
	v_pk_fma_f16 v21, 0xb964b5c8, v31, v34 op_sel:[0,0,1] op_sel_hi:[1,1,0]
	v_add_f16_e32 v10, v12, v10
	v_add_f16_e32 v11, v13, v11
	v_fmamk_f16 v12, v69, 0x39e9, v50
	v_mul_f16_e32 v67, 0xb1e1, v99
	v_fmamk_f16 v13, v69, 0x3722, v59
	v_pk_fma_f16 v24, 0x2de839e9, v61, v30
	v_pk_mul_f16 v37, 0x3722b8d2, v66
	v_pk_add_f16 v109, v17, v7 neg_lo:[0,1] neg_hi:[0,1]
	v_add_f16_e32 v9, v12, v9
	v_fmamk_f16 v12, v69, 0xbbdd, v67
	v_add_f16_e32 v10, v13, v10
	v_lshrrev_b32_e32 v13, 16, v21
	v_pk_fma_f16 v25, 0xba62bb29, v36, v37 op_sel:[0,0,1] op_sel_hi:[1,1,0]
	v_pk_mul_f16 v41, 0x2de8bbdd, v68
	v_lshrrev_b32_e32 v107, 16, v109
	v_add_f16_e32 v11, v12, v11
	v_add_f16_e32 v12, v13, v4
	v_lshrrev_b32_e32 v13, 16, v24
	v_pk_fma_f16 v28, 0xb1e1bbf7, v38, v41 op_sel:[0,0,1] op_sel_hi:[1,1,0]
	v_pk_mul_f16 v103, 0xb461bacd, v69
	v_pk_add_f16 v72, v7, v17
	v_mul_f16_e32 v52, 0xb5c8, v107
	v_pk_add_f16 v123, v18, v6 neg_lo:[0,1] neg_hi:[0,1]
	v_add_f16_e32 v12, v13, v12
	v_lshrrev_b32_e32 v13, 16, v25
	v_mul_f16_e32 v53, 0xba62, v40
	v_pk_fma_f16 v45, 0x3836bbb2, v42, v103 op_sel:[0,0,1] op_sel_hi:[1,1,0]
	v_pk_mul_f16 v113, 0xb8d2b461, v72
	v_fmamk_f16 v14, v72, 0x3b76, v52
	v_mul_f16_e32 v70, 0xb836, v107
	v_mul_f16_e32 v76, 0x3bf7, v107
	v_pk_add_f16 v81, v6, v18
	v_lshrrev_b32_e32 v128, 16, v123
	v_add_f16_e32 v12, v13, v12
	v_lshrrev_b32_e32 v13, 16, v28
	v_mul_f16_e32 v117, 0xb836, v40
	v_pk_fma_f16 v55, 0x3bb2ba62, v109, v113 op_sel:[0,0,1] op_sel_hi:[1,1,0]
	v_add_f16_e32 v9, v14, v9
	v_fmamk_f16 v14, v72, 0xbacd, v70
	v_fmamk_f16 v57, v72, 0x2de8, v76
	v_mul_f16_e64 v64, 0xbbf7, v128
	v_pk_mul_f16 v130, 0xbacd3722, v81
	v_add_f16_e32 v12, v13, v12
	v_lshrrev_b32_e32 v13, 16, v45
	v_pk_add_f16 v79, v16, v15
	v_fmamk_f16 v74, v63, 0xb8d2, v53
	v_mul_f16_e32 v98, 0x3bb2, v39
	v_fmamk_f16 v78, v63, 0xbacd, v117
	v_mul_f16_e32 v119, 0x3b29, v39
	v_add_f16_e32 v10, v14, v10
	v_fmamk_f16 v14, v81, 0x2de8, v64
	v_add_f16_e32 v11, v57, v11
	v_pk_fma_f16 v57, 0x3b29b836, v123, v130 op_sel:[0,0,1] op_sel_hi:[1,1,0]
	v_mul_f16_e64 v71, 0x3a62, v128
	v_pk_add_f16 v139, v15, v16 neg_lo:[0,1] neg_hi:[0,1]
	v_add_f16_e32 v12, v13, v12
	v_lshrrev_b32_e32 v13, 16, v55
	v_pk_mul_f16 v183, 0xbbdd3b76, v79
	v_add_f16_e32 v74, v74, v4
	v_fmamk_f16 v80, v62, 0xb461, v98
	v_add_f16_e32 v82, v78, v4
	v_fmamk_f16 v83, v62, 0x3722, v119
	v_mul_f16_e32 v100, 0xb5c8, v86
	v_mul_f16_e32 v120, 0xbbf7, v86
	v_add_f16_e32 v9, v14, v9
	v_fmamk_f16 v14, v81, 0xb8d2, v71
	v_lshrrev_b32_e32 v180, 16, v139
	v_mul_f16_e64 v77, 0xb5c8, v128
	v_add_f16_e32 v12, v13, v12
	v_lshrrev_b32_e32 v13, 16, v57
	v_pk_fma_f16 v58, 0x35c8b1e1, v139, v183 op_sel:[0,0,1] op_sel_hi:[1,1,0]
	v_add_f16_e32 v74, v80, v74
	v_add_f16_e32 v80, v83, v82
	v_fmamk_f16 v82, v66, 0x3b76, v100
	v_fmamk_f16 v83, v66, 0x2de8, v120
	v_mul_f16_e32 v101, 0xb836, v91
	v_mul_f16_e32 v122, 0x3a62, v91
	v_mul_f16_e64 v65, 0xb836, v180
	v_add_f16_e32 v14, v14, v10
	v_fmamk_f16 v10, v81, 0x3b76, v77
	v_add_f16_e32 v12, v13, v12
	v_lshrrev_b32_e32 v13, 16, v58
	v_add_f16_e32 v74, v82, v74
	v_add_f16_e32 v80, v83, v80
	v_fmamk_f16 v82, v68, 0xbacd, v101
	v_fmamk_f16 v83, v68, 0xb8d2, v122
	v_mul_f16_e32 v96, 0x3bf7, v99
	v_mul_f16_e32 v114, 0xb5c8, v99
	v_fmamk_f16 v73, v79, 0xbacd, v65
	v_add_f16_e32 v11, v10, v11
	v_add_f16_e32 v10, v13, v12
	v_add_f16_e32 v12, v82, v74
	v_add_f16_e32 v13, v83, v80
	v_fmamk_f16 v74, v69, 0x2de8, v96
	v_fmamk_f16 v80, v69, 0x3b76, v114
	v_mul_f16_e32 v97, 0xb964, v107
	v_mul_f16_e32 v115, 0xb1e1, v107
	v_add_f16_e32 v9, v73, v9
	v_add_f16_e32 v12, v74, v12
	;; [unrolled: 1-line block ×3, first 2 shown]
	v_fmamk_f16 v73, v72, 0x39e9, v97
	v_fmamk_f16 v74, v72, 0xbbdd, v115
	v_mul_f16_e64 v94, 0xb1e1, v128
	v_mul_f16_e64 v116, 0x3964, v128
	;; [unrolled: 1-line block ×4, first 2 shown]
	v_add_f16_e32 v12, v73, v12
	v_add_f16_e32 v13, v74, v13
	v_fmamk_f16 v73, v81, 0xbbdd, v94
	v_fmamk_f16 v74, v81, 0x39e9, v116
	v_mul_f16_e64 v95, 0x3b29, v180
	v_fmamk_f16 v80, v79, 0x39e9, v75
	v_fmamk_f16 v82, v79, 0xb8d2, v78
	v_mul_f16_e64 v110, 0xbbb2, v180
	v_add_f16_e32 v83, v73, v12
	v_add_f16_e32 v13, v74, v13
	v_fmamk_f16 v74, v79, 0x3722, v95
	v_mul_f16_e32 v73, 0xb5c8, v40
	v_fmamk_f16 v84, v79, 0xb461, v110
	v_add_f16_e32 v12, v80, v14
	v_add_f16_e32 v11, v82, v11
	;; [unrolled: 1-line block ×3, first 2 shown]
	v_fmamk_f16 v82, v63, 0x3b76, v73
	v_lshrrev_b32_e32 v144, 16, v63
	v_mul_f16_e32 v80, 0xb964, v31
	v_mul_f16_e32 v74, 0xb964, v39
	v_mul_f16_e32 v89, 0xbb29, v31
	v_add_f16_e32 v13, v84, v13
	v_add_f16_e32 v82, v82, v4
	v_lshrrev_b32_e32 v83, 16, v4
	v_fma_f16 v85, v144, 0x39e9, -v80
	v_fmamk_f16 v87, v62, 0x39e9, v74
	v_mul_f16_e32 v84, 0xbbf7, v35
	v_fma_f16 v88, v144, 0x3722, -v89
	v_mul_f16_e32 v90, 0xba62, v35
	v_mul_f16_e32 v104, 0xbbf7, v31
	v_add_f16_e32 v85, v85, v83
	v_fma_f16 v92, v61, 0x2de8, -v84
	v_add_f16_e32 v88, v88, v83
	v_fma_f16 v93, v61, 0xb8d2, -v90
	;; [unrolled: 2-line block ×3, first 2 shown]
	v_mul_f16_e32 v121, 0xbbb2, v31
	v_mul_f16_e64 v136, 0xba62, v31
	v_mul_f16_e32 v106, 0xb1e1, v35
	v_add_f16_e32 v92, v92, v85
	v_add_f16_e32 v88, v93, v88
	;; [unrolled: 1-line block ×3, first 2 shown]
	v_fma_f16 v85, v144, 0xb461, -v121
	v_mul_f16_e32 v125, 0x3836, v35
	v_fma_f16 v87, v144, 0xb8d2, -v136
	v_mul_f16_e64 v137, 0x3bb2, v35
	v_fma_f16 v93, v61, 0xbbdd, -v106
	v_mul_f16_e64 v150, 0xb836, v31
	v_add_f16_e32 v85, v85, v83
	v_fma_f16 v105, v61, 0xbacd, -v125
	v_add_f16_e32 v87, v87, v83
	v_fma_f16 v108, v61, 0xb461, -v137
	v_add_f16_e32 v93, v93, v82
	v_mul_f16_e64 v156, 0xb1e1, v40
	v_fma_f16 v82, v144, 0xbacd, -v150
	v_mul_f16_e64 v151, 0x3b29, v35
	v_add_f16_e32 v40, v105, v85
	v_add_f16_e32 v108, v108, v87
	v_fma_f16 v85, 0xbbdd, v63, v156
	v_mul_f16_e64 v157, 0x35c8, v39
	v_mul_f16_e64 v165, 0xb1e1, v31
	v_add_f16_e32 v39, v82, v83
	v_fma_f16 v87, v61, 0x3722, -v151
	v_mul_f16_e32 v82, 0xbb29, v86
	v_add_f16_e32 v85, v85, v4
	v_fma_f16 v105, 0x3b76, v62, v157
	v_fma_f16 v111, v144, 0xbbdd, -v165
	v_mul_f16_e64 v166, 0x35c8, v35
	v_add_f16_e32 v35, v87, v39
	v_fmamk_f16 v118, v66, 0x3722, v82
	v_lshrrev_b32_e32 v145, 16, v66
	v_mul_f16_e32 v87, 0xba62, v36
	v_add_f16_e32 v39, v105, v85
	v_add_f16_e32 v111, v111, v83
	v_fma_f16 v112, v61, 0x3b76, -v166
	v_mul_f16_e32 v105, 0x31e1, v36
	v_pk_fma_f16 v85, 0xb964b5c8, v31, v34 op_sel:[0,0,1] op_sel_hi:[1,1,0] neg_lo:[0,1,0] neg_hi:[0,1,0]
	v_add_f16_e32 v34, v118, v102
	v_fma_f16 v102, v145, 0xb8d2, -v87
	v_mul_f16_e64 v131, 0x3964, v36
	v_mul_f16_e64 v142, 0xb5c8, v36
	v_add_f16_e32 v31, v112, v111
	v_fma_f16 v111, v145, 0xbbdd, -v105
	v_mul_f16_e32 v118, 0x3bb2, v36
	v_add_f16_e32 v102, v102, v92
	v_fma_f16 v92, v145, 0x39e9, -v131
	v_fma_f16 v112, v145, 0x3b76, -v142
	v_mul_f16_e64 v162, 0xb836, v86
	v_mul_f16_e32 v86, 0xbbf7, v91
	v_add_f16_e32 v111, v111, v88
	v_fma_f16 v88, v145, 0xb461, -v118
	v_mul_f16_e64 v158, 0xbbf7, v36
	v_add_f16_e32 v40, v92, v40
	v_add_f16_e32 v108, v112, v108
	v_fma_f16 v112, 0xbacd, v66, v162
	v_mul_f16_e64 v169, 0xb836, v36
	v_lshrrev_b32_e32 v146, 16, v68
	v_mul_f16_e32 v92, 0xb1e1, v38
	v_fmamk_f16 v126, v68, 0x2de8, v86
	v_add_f16_e32 v93, v88, v93
	v_fma_f16 v88, v145, 0x2de8, -v158
	v_add_f16_e32 v39, v112, v39
	v_fma_f16 v124, v145, 0xbacd, -v169
	v_fma_f16 v127, v146, 0xbbdd, -v92
	v_mul_f16_e32 v112, 0x3bb2, v38
	v_add_f16_e32 v34, v126, v34
	v_mul_f16_e32 v126, 0x35c8, v38
	v_mul_f16_e64 v147, 0xb836, v38
	v_add_f16_e32 v35, v88, v35
	v_pk_fma_f16 v88, 0xba62bb29, v36, v37 op_sel:[0,0,1] op_sel_hi:[1,1,0] neg_lo:[0,1,0] neg_hi:[0,1,0]
	v_add_f16_e32 v31, v124, v31
	v_add_f16_e32 v36, v127, v102
	v_fma_f16 v37, v146, 0xb461, -v112
	v_mul_f16_e64 v134, 0xbb29, v38
	v_mul_f16_e64 v161, 0x3a62, v38
	v_fma_f16 v102, v146, 0x3b76, -v126
	v_fma_f16 v124, v146, 0xbacd, -v147
	v_mul_f16_e64 v167, 0x3964, v91
	v_add_f16_e32 v37, v37, v111
	v_fma_f16 v111, v146, 0x3722, -v134
	v_fma_f16 v127, v146, 0xb8d2, -v161
	v_add_f16_e64 v129, v102, v93
	v_add_f16_e32 v108, v124, v108
	v_fma_f16 v93, 0x39e9, v68, v167
	v_mul_f16_e32 v91, 0xbbb2, v99
	v_lshrrev_b32_e32 v152, 16, v69
	v_mul_f16_e32 v124, 0x3964, v42
	v_mul_f16_e64 v140, 0xb1e1, v42
	v_mul_f16_e64 v154, 0x3bf7, v42
	v_add_f16_e32 v40, v111, v40
	v_add_f16_e32 v35, v127, v35
	v_mul_f16_e32 v102, 0x3836, v42
	v_add_f16_e32 v39, v93, v39
	v_fmamk_f16 v127, v69, 0xb461, v91
	v_fma_f16 v133, v152, 0x39e9, -v124
	v_pk_fma_f16 v93, 0xb1e1bbf7, v38, v41 op_sel:[0,0,1] op_sel_hi:[1,1,0] neg_lo:[0,1,0] neg_hi:[0,1,0]
	v_mul_f16_e64 v170, 0xba62, v99
	v_fma_f16 v41, v152, 0xbbdd, -v140
	v_fma_f16 v99, v152, 0x2de8, -v154
	v_mul_f16_e64 v173, 0x3964, v38
	v_fma_f16 v132, v152, 0xbacd, -v102
	v_add_f16_e32 v34, v127, v34
	v_add_f16_e64 v37, v133, v37
	v_mul_f16_e64 v133, 0xbb29, v42
	v_fma_f16 v127, 0xb8d2, v69, v170
	v_add_f16_e32 v40, v41, v40
	v_add_f16_e32 v41, v99, v108
	v_lshrrev_b32_e32 v153, 16, v72
	v_mul_f16_e32 v108, 0x3bb2, v109
	v_fma_f16 v111, v146, 0x39e9, -v173
	v_add_f16_e64 v36, v132, v36
	v_mul_f16_e64 v168, 0xb5c8, v42
	v_fma_f16 v38, v152, 0x3722, -v133
	v_add_f16_e32 v39, v127, v39
	v_mul_f16_e64 v176, 0xba62, v42
	v_fma_f16 v127, v153, 0xb461, -v108
	v_mul_f16_e64 v174, 0x3b29, v107
	v_add_f16_e32 v31, v111, v31
	v_fma_f16 v111, v152, 0x3b76, -v168
	v_add_f16_e64 v38, v38, v129
	v_mul_f16_e32 v99, 0xba62, v107
	v_mul_f16_e64 v129, 0xb5c8, v109
	v_pk_fma_f16 v103, 0x3836bbb2, v42, v103 op_sel:[0,0,1] op_sel_hi:[1,1,0] neg_lo:[0,1,0] neg_hi:[0,1,0]
	v_fma_f16 v42, v152, 0xb8d2, -v176
	v_mul_f16_e64 v135, 0xb836, v109
	v_add_f16_e32 v36, v127, v36
	v_fma_f16 v127, 0x3722, v72, v174
	v_add_f16_e32 v35, v111, v35
	v_fmamk_f16 v111, v72, 0xb8d2, v99
	v_fma_f16 v132, v153, 0x3b76, -v129
	v_add_f16_e32 v31, v42, v31
	v_fma_f16 v42, v153, 0xbacd, -v135
	v_mul_f16_e64 v143, 0x3bf7, v109
	v_mul_f16_e64 v160, 0xb964, v109
	;; [unrolled: 1-line block ×3, first 2 shown]
	v_add_f16_e32 v39, v127, v39
	v_lshrrev_b32_e32 v155, 16, v81
	v_mul_f16_e32 v127, 0xbbf7, v123
	v_add_f16_e32 v34, v111, v34
	v_add_f16_e64 v37, v132, v37
	v_add_f16_e32 v38, v42, v38
	v_fma_f16 v42, v153, 0x2de8, -v143
	v_fma_f16 v107, v153, 0x39e9, -v160
	;; [unrolled: 1-line block ×3, first 2 shown]
	v_mul_f16_e64 v179, 0x3b29, v109
	v_fma_f16 v132, v155, 0x2de8, -v127
	v_mul_f16_e64 v177, 0xbbb2, v128
	v_add_f16_e32 v40, v42, v40
	v_add_f16_e32 v41, v107, v41
	;; [unrolled: 1-line block ×3, first 2 shown]
	v_fma_f16 v42, v153, 0x3722, -v179
	v_mul_f16_e64 v107, 0xb836, v128
	v_mul_f16_e32 v111, 0x3b29, v123
	v_add_f16_e64 v37, v132, v37
	v_fma_f16 v132, 0xb461, v81, v177
	v_pk_fma_f16 v109, 0x3bb2ba62, v109, v113 op_sel:[0,0,1] op_sel_hi:[1,1,0] neg_lo:[0,1,0] neg_hi:[0,1,0]
	v_fmamk_f16 v113, v81, 0xbacd, v107
	v_add_f16_e32 v31, v42, v31
	v_fma_f16 v42, v155, 0x3722, -v111
	v_mul_f16_e64 v141, 0x3a62, v123
	v_mul_f16_e64 v148, 0xb5c8, v123
	v_add_f16_e64 v39, v132, v39
	v_pk_fma_f16 v132, 0x2de839e9, v61, v30 neg_lo:[0,0,1] neg_hi:[0,0,1]
	v_add_f16_e32 v30, v85, v83
	v_add_f16_e32 v34, v113, v34
	;; [unrolled: 1-line block ×3, first 2 shown]
	v_fma_f16 v42, v155, 0xb8d2, -v141
	v_mul_f16_e64 v164, 0xb1e1, v123
	v_fma_f16 v113, v155, 0x3b76, -v148
	v_mul_f16_e64 v175, 0x3964, v123
	v_add_f16_e64 v30, v132, v30
	v_add_f16_e32 v38, v42, v38
	v_fma_f16 v42, v155, 0xbbdd, -v164
	v_add_f16_e32 v40, v113, v40
	v_fma_f16 v128, v155, 0x39e9, -v175
	v_mul_f16_e64 v181, 0xbbb2, v123
	v_mul_f16_e64 v113, 0xb1e1, v180
	v_add_f16_e32 v30, v88, v30
	v_add_f16_e32 v41, v42, v41
	v_add_f16_e64 v42, v128, v35
	v_fma_f16 v35, v155, 0xb461, -v181
	v_pk_fma_f16 v123, 0x3b29b836, v123, v130 op_sel:[0,0,1] op_sel_hi:[1,1,0] neg_lo:[0,1,0] neg_hi:[0,1,0]
	v_fma_f16 v130, 0xbbdd, v79, v113
	v_lshrrev_b32_e32 v163, 16, v79
	v_mul_f16_e64 v128, 0x35c8, v139
	v_mul_f16_e64 v149, 0x3964, v139
	v_add_f16_e32 v30, v93, v30
	v_add_f16_e32 v31, v35, v31
	v_add_f16_e64 v35, v130, v34
	v_mul_f16_e64 v138, 0xb836, v139
	v_fma_f16 v34, v163, 0x3b76, -v128
	v_mul_f16_e64 v159, 0xba62, v139
	v_fma_f16 v171, v163, 0x39e9, -v149
	v_add_f16_e32 v30, v103, v30
	v_fma_f16 v130, v163, 0xbacd, -v138
	v_add_f16_e32 v36, v34, v36
	v_fma_f16 v34, v163, 0xb8d2, -v159
	v_add_f16_e64 v38, v171, v38
	v_mul_f16_e64 v171, 0x3b29, v139
	v_mul_f16_e64 v178, 0xbbb2, v139
	v_mul_f16_e64 v180, 0x3bf7, v180
	v_mul_f16_e64 v182, 0x3bf7, v139
	v_add_f16_e32 v30, v109, v30
	v_add_f16_e64 v37, v130, v37
	v_add_f16_e32 v40, v34, v40
	v_fma_f16 v34, v163, 0x3722, -v171
	v_fma_f16 v184, v163, 0xb461, -v178
	v_fma_f16 v185, 0x2de8, v79, v180
	v_pk_fma_f16 v130, 0x35c8b1e1, v139, v183 op_sel:[0,0,1] op_sel_hi:[1,1,0] neg_lo:[0,1,0] neg_hi:[0,1,0]
	v_fma_f16 v139, v163, 0x2de8, -v182
	v_add_f16_e64 v183, v123, v30
	v_add_f16_e32 v41, v34, v41
	v_add_f16_e64 v42, v184, v42
	v_add_f16_e64 v30, v185, v39
	;; [unrolled: 1-line block ×4, first 2 shown]
	v_mul_lo_u16 v34, v33, 17
	global_wb scope:SCOPE_SE
	s_barrier_signal -1
	s_barrier_wait -1
	global_inv scope:SCOPE_SE
	s_and_saveexec_b32 s0, vcc_lo
	s_cbranch_execz .LBB0_7
; %bb.6:
	v_mul_f16_e64 v183, 0xbbdd, v144
	v_mul_f16_e64 v184, 0x3b76, v61
	;; [unrolled: 1-line block ×5, first 2 shown]
	v_add_f16_e64 v165, v165, v183
	v_mul_f16_e64 v183, 0xbacd, v145
	v_add_f16_e64 v166, v166, v184
	v_mul_f16_e64 v184, 0x39e9, v146
	v_add_f16_e64 v179, v179, v191
	v_add_f16_e64 v165, v165, v83
	v_add_f16_e64 v169, v169, v183
	v_mul_f16_e64 v190, 0x2de8, v144
	v_add_f16_e64 v173, v173, v184
	v_mul_f16_e64 v184, 0xb461, v144
	v_add_f16_e64 v165, v166, v165
	v_mul_f16_e64 v166, 0xb8d2, v152
	v_mul_f16_e64 v185, 0x3b76, v63
	;; [unrolled: 1-line block ×4, first 2 shown]
	v_add_f16_e64 v165, v169, v165
	v_mul_f16_e64 v169, 0xbbdd, v63
	v_add_f16_e64 v166, v176, v166
	v_mul_f16_e64 v176, 0xb8d2, v144
	v_mul_f16_e64 v144, 0xbacd, v144
	v_add_f16_e64 v165, v173, v165
	v_mul_f16_e64 v173, 0x3b76, v62
	v_sub_f16_e64 v156, v169, v156
	v_mul_f16_e64 v169, 0xbacd, v66
	v_add_f16_e64 v144, v150, v144
	v_add_f16_e64 v165, v166, v165
	v_sub_f16_e64 v157, v173, v157
	v_add_f16_e64 v156, v156, v4
	v_sub_f16_e64 v162, v169, v162
	v_add_f16_e64 v144, v144, v83
	v_add_f16_e64 v165, v179, v165
	v_mul_f16_e64 v179, 0x39e9, v68
	v_add_f16_e64 v156, v157, v156
	v_mul_f16_e64 v166, 0xb461, v155
	v_mul_f16_e64 v183, 0xb461, v63
	;; [unrolled: 1-line block ×3, first 2 shown]
	v_sub_f16_e64 v167, v179, v167
	v_add_f16_e64 v156, v162, v156
	v_mul_f16_e64 v162, 0x3722, v61
	v_mul_f16_e64 v179, 0xb8d2, v69
	v_mul_f16_e32 v63, 0xbacd, v63
	v_add_f16_e64 v166, v181, v166
	v_add_f16_e64 v156, v167, v156
	v_add_f16_e64 v151, v151, v162
	v_sub_f16_e64 v170, v179, v170
	v_mul_f16_e64 v167, 0x2de8, v145
	v_mul_f16_e64 v173, 0x39e9, v62
	v_add_f16_e64 v165, v166, v165
	v_add_f16_e64 v144, v151, v144
	v_mul_f16_e64 v151, 0x3722, v72
	v_add_f16_e64 v156, v170, v156
	v_mul_f16_e64 v170, 0xb8d2, v146
	;; [unrolled: 2-line block ×3, first 2 shown]
	v_sub_f16_e64 v151, v151, v174
	v_mul_f16_e64 v162, 0xbbdd, v62
	v_add_f16_e64 v161, v161, v170
	v_mul_f16_e64 v170, 0xb461, v81
	v_mul_f16_e64 v167, 0xbacd, v62
	v_add_f16_e64 v151, v151, v156
	v_add_f16_e64 v144, v158, v144
	v_mul_f16_e64 v158, 0xb461, v62
	v_sub_f16_e64 v170, v170, v177
	v_mul_f16_e32 v62, 0x3722, v62
	v_sub_f16_e32 v63, v63, v117
	v_mul_f16_e64 v117, 0x39e9, v155
	v_mul_f16_e64 v157, 0x2de8, v163
	v_add_f16_e64 v151, v170, v151
	v_mul_f16_e64 v170, 0x2de8, v79
	v_mul_f16_e64 v156, 0x3b76, v152
	v_sub_f16_e32 v62, v62, v119
	v_add_f16_e32 v63, v63, v4
	v_add_f16_e64 v117, v175, v117
	v_sub_f16_e64 v170, v170, v180
	v_mul_f16_e64 v175, 0x2de8, v66
	v_mul_f16_e64 v169, 0x2de8, v61
	v_add_f16_e64 v157, v182, v157
	v_mul_f16_e64 v150, 0xb8d2, v61
	v_mul_f16_e64 v179, 0xbbdd, v61
	;; [unrolled: 1-line block ×3, first 2 shown]
	v_mul_f16_e32 v61, 0xb461, v61
	v_add_f16_e64 v144, v161, v144
	v_add_f16_e64 v156, v168, v156
	v_add_f16_e32 v62, v62, v63
	v_sub_f16_e64 v120, v175, v120
	v_add_f16_e64 v151, v170, v151
	v_mul_f16_e64 v170, 0xb8d2, v68
	v_add_f16_e64 v136, v136, v176
	v_mul_f16_e64 v161, 0xb8d2, v145
	;; [unrolled: 2-line block ×4, first 2 shown]
	v_mul_f16_e64 v180, 0xb461, v145
	v_mul_f16_e64 v119, 0x39e9, v145
	;; [unrolled: 1-line block ×3, first 2 shown]
	v_add_f16_e32 v62, v120, v62
	v_sub_f16_e64 v122, v170, v122
	v_mul_f16_e64 v176, 0x3b76, v69
	v_add_f16_e64 v61, v137, v61
	v_add_f16_e64 v136, v136, v83
	;; [unrolled: 1-line block ×3, first 2 shown]
	v_add_f16_e32 v62, v122, v62
	v_sub_f16_e64 v114, v176, v114
	v_add_f16_e64 v142, v142, v145
	v_add_f16_e64 v61, v61, v136
	v_mul_f16_e64 v136, 0xbbdd, v72
	v_add_f16_e64 v144, v165, v144
	v_mul_f16_e64 v175, 0xbbdd, v146
	v_mul_f16_e64 v170, 0xb461, v146
	;; [unrolled: 1-line block ×5, first 2 shown]
	v_add_f16_e32 v62, v114, v62
	v_sub_f16_e64 v115, v136, v115
	v_add_f16_e64 v61, v142, v61
	v_mul_f16_e64 v142, 0x39e9, v81
	v_sub_f16_e64 v53, v192, v53
	v_mul_f16_e64 v177, 0x3722, v66
	v_mul_f16_e64 v168, 0xbbdd, v66
	;; [unrolled: 1-line block ×4, first 2 shown]
	v_mul_f16_e32 v66, 0x3b76, v66
	v_add_f16_e64 v117, v117, v144
	v_mul_f16_e64 v144, 0xb461, v163
	v_add_f16_e64 v146, v147, v146
	v_add_f16_e32 v62, v115, v62
	v_mul_f16_e64 v115, 0x2de8, v152
	v_sub_f16_e64 v116, v142, v116
	v_sub_f16_e64 v98, v158, v98
	v_add_f16_e32 v53, v53, v4
	v_mul_f16_e32 v63, 0x2de8, v68
	v_mul_f16_e32 v120, 0xb461, v68
	v_add_f16_e64 v144, v178, v144
	v_mul_f16_e64 v178, 0x3b76, v68
	v_mul_f16_e64 v137, 0x3722, v68
	v_mul_f16_e32 v68, 0xbacd, v68
	v_add_f16_e64 v61, v146, v61
	v_add_f16_e64 v115, v154, v115
	v_add_f16_e32 v62, v116, v62
	v_mul_f16_e64 v116, 0x39e9, v153
	v_add_f16_e32 v53, v98, v53
	v_sub_f16_e32 v66, v66, v100
	v_add_f16_e64 v121, v121, v184
	v_mul_f16_e64 v145, 0xb461, v69
	v_mul_f16_e64 v136, 0x39e9, v69
	;; [unrolled: 1-line block ×4, first 2 shown]
	v_mul_f16_e32 v69, 0x2de8, v69
	v_add_f16_e32 v61, v115, v61
	v_add_f16_e64 v116, v160, v116
	v_mul_f16_e64 v160, 0xbbdd, v155
	v_add_f16_e32 v53, v66, v53
	v_sub_f16_e32 v68, v68, v101
	v_add_f16_e64 v125, v125, v174
	v_add_f16_e32 v121, v121, v83
	v_add_f16_e64 v117, v144, v117
	v_mul_f16_e64 v144, 0xb8d2, v72
	v_mul_f16_e64 v181, 0x3b76, v72
	v_add_f16_e32 v61, v116, v61
	v_mul_f16_e32 v116, 0xbacd, v72
	v_add_f16_e64 v160, v164, v160
	v_mul_f16_e32 v98, 0xb461, v79
	v_mul_f16_e32 v100, 0x2de8, v72
	v_mul_f16_e32 v72, 0x39e9, v72
	v_add_f16_e32 v53, v68, v53
	v_sub_f16_e32 v69, v69, v96
	v_add_f16_e32 v121, v125, v121
	v_add_f16_e64 v119, v131, v119
	v_sub_f16_e64 v47, v183, v47
	v_mul_f16_e64 v114, 0xbacd, v152
	v_mul_f16_e64 v147, 0x39e9, v152
	;; [unrolled: 1-line block ×4, first 2 shown]
	v_sub_f16_e32 v98, v98, v110
	v_mul_f16_e32 v110, 0xbacd, v81
	v_add_f16_e64 v61, v160, v61
	v_mul_f16_e64 v160, 0x3722, v163
	v_mul_f16_e32 v101, 0x2de8, v81
	v_mul_f16_e64 v182, 0xb8d2, v81
	v_mul_f16_e64 v174, 0x3b76, v81
	v_mul_f16_e32 v81, 0xbbdd, v81
	v_add_f16_e32 v53, v69, v53
	v_sub_f16_e32 v72, v72, v97
	v_add_f16_e32 v119, v119, v121
	v_add_f16_e64 v134, v134, v176
	v_add_f16_e32 v47, v47, v4
	v_sub_f16_e64 v48, v167, v48
	v_mul_f16_e64 v115, 0xb461, v153
	v_mul_f16_e64 v158, 0x3b76, v153
	;; [unrolled: 1-line block ×4, first 2 shown]
	v_add_f16_e64 v160, v171, v160
	v_mul_f16_e32 v96, 0xbbdd, v79
	v_mul_f16_e64 v131, 0xbacd, v79
	v_mul_f16_e32 v97, 0x39e9, v79
	v_mul_f16_e64 v183, 0xb8d2, v79
	v_mul_f16_e32 v79, 0x3722, v79
	v_add_f16_e32 v53, v72, v53
	v_sub_f16_e32 v72, v81, v94
	v_add_f16_e64 v81, v134, v119
	v_add_f16_e64 v94, v140, v152
	v_add_f16_e32 v47, v48, v47
	v_sub_f16_e64 v48, v165, v54
	v_mul_f16_e64 v66, 0x3722, v155
	v_mul_f16_e64 v171, 0x2de8, v155
	;; [unrolled: 1-line block ×4, first 2 shown]
	v_add_f16_e64 v54, v160, v61
	v_add_f16_e32 v53, v72, v53
	v_add_f16_e32 v61, v94, v81
	v_add_f16_e64 v72, v143, v153
	v_add_f16_e32 v47, v48, v47
	v_sub_f16_e64 v48, v137, v60
	v_sub_f16_e32 v60, v79, v95
	v_add_f16_e64 v79, v104, v190
	v_alignbit_b32 v139, v4, v4, 16
	v_add_f16_e32 v61, v72, v61
	v_add_f16_e64 v72, v148, v155
	v_add_f16_e32 v47, v48, v47
	v_sub_f16_e64 v48, v154, v67
	v_add_f16_e32 v67, v79, v83
	v_add_f16_e64 v79, v106, v179
	v_alignbit_b32 v56, v56, v56, 16
	v_pk_add_f16 v5, v5, v139 op_sel:[0,1] op_sel_hi:[1,0]
	v_add_f16_e32 v53, v60, v53
	v_add_f16_e32 v60, v72, v61
	;; [unrolled: 1-line block ×3, first 2 shown]
	v_sub_f16_e32 v48, v100, v76
	v_add_f16_e32 v61, v79, v67
	v_add_f16_e64 v67, v118, v180
	v_sub_f16_e64 v29, v189, v29
	v_pk_add_f16 v5, v56, v5
	v_add_f16_e32 v47, v48, v47
	v_sub_f16_e64 v48, v174, v77
	v_add_f16_e32 v61, v67, v61
	v_add_f16_e32 v67, v126, v122
	;; [unrolled: 1-line block ×3, first 2 shown]
	v_sub_f16_e64 v43, v162, v43
	v_pk_add_f16 v5, v22, v5
	v_add_f16_e32 v47, v48, v47
	v_add_f16_e32 v48, v67, v61
	v_add_f16_e64 v61, v133, v146
	v_add_f16_e32 v29, v43, v29
	v_sub_f16_e64 v43, v172, v49
	v_add_f16_e64 v67, v89, v188
	v_pk_add_f16 v5, v19, v5
	v_add_f16_e32 v48, v61, v48
	v_add_f16_e64 v61, v135, v164
	v_add_f16_e32 v29, v43, v29
	v_sub_f16_e64 v43, v178, v51
	v_add_f16_e32 v51, v67, v83
	v_add_f16_e64 v67, v90, v150
	v_pk_add_f16 v5, v20, v5
	v_mul_f16_e64 v121, 0x39e9, v163
	v_sub_f16_e64 v49, v183, v78
	v_add_f16_e32 v48, v61, v48
	v_add_f16_e64 v61, v141, v68
	v_add_f16_e32 v29, v43, v29
	v_sub_f16_e64 v43, v142, v59
	v_add_f16_e32 v51, v67, v51
	v_add_f16_e64 v59, v105, v156
	v_sub_f16_e64 v26, v187, v26
	v_pk_add_f16 v5, v17, v5
	v_add_f16_e32 v47, v49, v47
	v_add_f16_e32 v48, v61, v48
	;; [unrolled: 1-line block ×3, first 2 shown]
	v_add_f16_e64 v59, v149, v121
	v_add_f16_e32 v26, v26, v4
	v_sub_f16_e64 v27, v166, v27
	v_pk_add_f16 v5, v18, v5
	v_sub_f16_e64 v20, v185, v73
	v_bfi_b32 v18, 0xffff, v21, v85
	v_sub_f16_e64 v17, v173, v74
	v_add_f16_e32 v26, v27, v26
	v_sub_f16_e64 v27, v168, v44
	v_add_f16_e32 v44, v59, v48
	v_add_f16_e64 v48, v80, v186
	v_pk_add_f16 v5, v15, v5
	v_add_f16_e32 v4, v20, v4
	v_add_f16_e32 v26, v27, v26
	v_sub_f16_e32 v27, v120, v46
	v_add_f16_e32 v46, v48, v83
	v_add_f16_e64 v48, v84, v169
	v_bfi_b32 v21, 0xffff, v24, v132
	v_pk_add_f16 v15, v18, v139
	v_pk_add_f16 v5, v16, v5
	v_add_f16_e32 v26, v27, v26
	v_sub_f16_e64 v27, v136, v50
	v_add_f16_e32 v46, v48, v46
	v_add_f16_e64 v48, v87, v161
	v_add_f16_e32 v4, v17, v4
	v_sub_f16_e64 v17, v177, v82
	v_bfi_b32 v18, 0xffff, v25, v88
	v_pk_add_f16 v15, v21, v15
	v_pk_add_f16 v5, v6, v5
	v_add_f16_e32 v26, v27, v26
	v_sub_f16_e64 v27, v181, v52
	v_add_f16_e32 v22, v48, v46
	v_add_f16_e64 v46, v92, v175
	v_add_f16_e32 v4, v17, v4
	v_sub_f16_e32 v17, v63, v86
	v_bfi_b32 v21, 0xffff, v28, v93
	v_pk_add_f16 v6, v18, v15
	v_add_f16_e32 v29, v43, v29
	v_sub_f16_e32 v43, v116, v70
	v_add_f16_e64 v51, v112, v170
	v_pk_add_f16 v5, v7, v5
	v_add_f16_e32 v26, v27, v26
	v_sub_f16_e32 v19, v101, v64
	v_add_f16_e32 v22, v46, v22
	v_add_f16_e32 v27, v102, v114
	;; [unrolled: 1-line block ×3, first 2 shown]
	v_sub_f16_e64 v15, v145, v91
	v_bfi_b32 v17, 0xffff, v45, v103
	v_pk_add_f16 v6, v21, v6
	v_add_f16_e32 v29, v43, v29
	v_sub_f16_e64 v43, v182, v71
	v_add_f16_e32 v49, v51, v49
	v_add_f16_e64 v51, v124, v147
	v_pk_add_f16 v2, v2, v5
	v_add_f16_e32 v19, v19, v26
	v_add_f16_e32 v22, v27, v22
	;; [unrolled: 1-line block ×4, first 2 shown]
	v_sub_f16_e64 v7, v144, v99
	v_bfi_b32 v15, 0xffff, v55, v109
	v_pk_add_f16 v5, v17, v6
	v_add_f16_e32 v29, v43, v29
	v_sub_f16_e32 v43, v97, v75
	v_add_f16_e32 v49, v51, v49
	v_add_f16_e64 v51, v129, v158
	v_pk_add_f16 v2, v3, v2
	v_mul_f16_e64 v125, 0x3b76, v163
	v_add_f16_e32 v22, v26, v22
	v_add_f16_e32 v16, v111, v66
	v_bfi_b32 v6, 0xffff, v57, v123
	v_add_f16_e32 v4, v7, v4
	v_sub_f16_e32 v7, v110, v107
	v_pk_add_f16 v3, v15, v5
	v_mul_f16_e64 v69, 0xbacd, v163
	v_add_f16_e32 v29, v43, v29
	v_add_f16_e32 v43, v51, v49
	v_add_f16_e64 v49, v127, v171
	v_mul_f16_e64 v163, 0xb8d2, v163
	v_pk_add_f16 v0, v0, v2
	v_add_f16_e32 v16, v16, v22
	v_add_f16_e64 v5, v128, v125
	v_bfi_b32 v15, 0xffff, v58, v130
	v_add_f16_e32 v4, v7, v4
	v_pk_add_f16 v2, v6, v3
	v_sub_f16_e32 v3, v96, v113
	v_add_f16_e32 v43, v49, v43
	v_add_f16_e64 v48, v138, v69
	v_sub_f16_e64 v20, v131, v65
	v_add_f16_e64 v72, v159, v163
	v_and_b32_e32 v6, 0xffff, v34
	v_pk_add_f16 v0, v1, v0
	v_add_f16_e32 v5, v5, v16
	v_pk_add_f16 v1, v15, v2
	v_add_f16_e32 v2, v3, v4
	v_add_f16_e32 v43, v48, v43
	;; [unrolled: 1-line block ×4, first 2 shown]
	v_lshlrev_b32_e32 v4, 2, v6
	v_pk_add_f16 v0, v23, v0
	v_add_f16_e32 v15, v98, v62
	v_alignbit_b32 v5, v5, v1, 16
	v_pack_b32_f16 v1, v2, v1
	v_pack_b32_f16 v2, v29, v44
	;; [unrolled: 1-line block ×5, first 2 shown]
	ds_store_b32 v4, v0
	ds_store_2addr_b32 v4, v1, v5 offset0:1 offset1:2
	ds_store_2addr_b32 v4, v3, v2 offset0:3 offset1:4
	;; [unrolled: 1-line block ×3, first 2 shown]
	v_pack_b32_f16 v0, v151, v157
	v_pack_b32_f16 v1, v15, v117
	v_perm_b32 v2, v42, v13, 0x5040100
	v_perm_b32 v3, v31, v30, 0x5040100
	;; [unrolled: 1-line block ×8, first 2 shown]
	ds_store_2addr_b32 v4, v1, v0 offset0:7 offset1:8
	ds_store_2addr_b32 v4, v3, v2 offset0:9 offset1:10
	;; [unrolled: 1-line block ×5, first 2 shown]
.LBB0_7:
	s_wait_alu 0xfffe
	s_or_b32 exec_lo, exec_lo, s0
	v_and_b32_e32 v0, 0xff, v33
	s_load_b128 s[4:7], s[4:5], 0x0
	global_wb scope:SCOPE_SE
	s_wait_dscnt 0x0
	s_wait_kmcnt 0x0
	s_barrier_signal -1
	s_barrier_wait -1
	v_mul_lo_u16 v0, 0xf1, v0
	global_inv scope:SCOPE_SE
	v_add_nc_u32_e32 v27, 0x200, v32
	v_add_nc_u32_e32 v23, 0x400, v32
	;; [unrolled: 1-line block ×3, first 2 shown]
	v_lshrrev_b16 v24, 12, v0
	v_add_nc_u32_e32 v29, 0x600, v32
	v_cmp_gt_u16_e64 s0, 51, v33
	s_delay_alu instid0(VALU_DEP_3) | instskip(SKIP_1) | instid1(VALU_DEP_2)
	v_mul_lo_u16 v0, v24, 17
	v_and_b32_e32 v24, 0xffff, v24
	v_sub_nc_u16 v0, v33, v0
	s_delay_alu instid0(VALU_DEP_2) | instskip(NEXT) | instid1(VALU_DEP_2)
	v_mul_u32_u24_e32 v24, 0x99, v24
	v_and_b32_e32 v25, 0xff, v0
	s_delay_alu instid0(VALU_DEP_1) | instskip(NEXT) | instid1(VALU_DEP_3)
	v_lshlrev_b32_e32 v4, 5, v25
	v_add_lshl_u32 v43, v24, v25, 2
	s_clause 0x1
	global_load_b128 v[0:3], v4, s[2:3]
	global_load_b128 v[4:7], v4, s[2:3] offset:16
	ds_load_2addr_b32 v[15:16], v32 offset1:102
	ds_load_b32 v26, v32 offset:3264
	ds_load_2addr_b32 v[17:18], v27 offset0:76 offset1:178
	ds_load_2addr_b32 v[19:20], v23 offset0:152 offset1:254
	ds_load_2addr_b32 v[21:22], v28 offset0:100 offset1:202
	global_wb scope:SCOPE_SE
	s_wait_loadcnt_dscnt 0x0
	s_barrier_signal -1
	s_barrier_wait -1
	global_inv scope:SCOPE_SE
	v_lshrrev_b32_e32 v47, 16, v17
	v_lshrrev_b32_e32 v45, 16, v16
	;; [unrolled: 1-line block ×17, first 2 shown]
	v_mul_f16_e32 v24, v45, v64
	v_mul_f16_e32 v25, v16, v64
	;; [unrolled: 1-line block ×16, first 2 shown]
	v_fma_f16 v16, v16, v0, -v24
	v_fmac_f16_e32 v25, v45, v0
	v_fma_f16 v17, v17, v1, -v57
	v_fmac_f16_e32 v61, v47, v1
	v_fma_f16 v19, v19, v3, -v65
	v_fma_f16 v20, v20, v4, -v67
	;; [unrolled: 1-line block ×3, first 2 shown]
	v_fmac_f16_e32 v74, v46, v7
	v_fma_f16 v22, v22, v6, -v71
	v_fmac_f16_e32 v72, v52, v6
	v_fma_f16 v18, v18, v2, -v62
	v_fmac_f16_e32 v63, v48, v2
	v_fmac_f16_e32 v66, v49, v3
	;; [unrolled: 1-line block ×3, first 2 shown]
	v_fma_f16 v21, v21, v5, -v69
	v_fmac_f16_e32 v70, v51, v5
	v_add_f16_e32 v26, v16, v24
	v_add_f16_e32 v45, v25, v74
	v_add_f16_e32 v46, v17, v22
	v_add_f16_e32 v47, v61, v72
	v_sub_f16_e32 v16, v16, v24
	v_sub_f16_e32 v24, v25, v74
	;; [unrolled: 1-line block ×3, first 2 shown]
	v_add_f16_e32 v48, v18, v21
	v_add_f16_e32 v49, v63, v70
	v_sub_f16_e32 v17, v17, v22
	v_add_f16_e32 v51, v19, v20
	v_add_f16_e32 v52, v66, v68
	v_mul_f16_e32 v57, 0x3924, v16
	v_mul_f16_e32 v65, 0xb924, v25
	v_add_f16_e32 v75, v46, v26
	v_add_f16_e32 v76, v47, v45
	v_mul_f16_e32 v77, 0x3be1, v25
	v_sub_f16_e32 v18, v18, v21
	v_fmac_f16_e32 v57, 0x3be1, v17
	v_fmac_f16_e32 v65, 0x3be1, v16
	v_add_f16_e32 v79, v51, v75
	v_add_f16_e32 v80, v52, v76
	v_fma_f16 v77, v17, 0xb924, -v77
	v_add_f16_e32 v75, v48, v75
	v_add_f16_e32 v76, v49, v76
	;; [unrolled: 1-line block ×3, first 2 shown]
	v_fmac_f16_e32 v57, 0x3aee, v18
	v_fmac_f16_e32 v65, 0xbaee, v18
	;; [unrolled: 1-line block ×3, first 2 shown]
	v_add_f16_e32 v18, v19, v75
	v_add_f16_e32 v19, v66, v76
	v_sub_f16_e32 v50, v66, v68
	v_sub_f16_e32 v71, v71, v17
	v_fmac_f16_e32 v65, 0x3579, v17
	v_add_f16_e32 v17, v20, v18
	v_add_f16_e32 v18, v68, v19
	v_sub_f16_e32 v21, v63, v70
	v_mul_f16_e32 v67, 0xb924, v50
	v_fmamk_f16 v69, v51, 0x3a21, v15
	v_fmamk_f16 v70, v52, 0x3a21, v44
	v_sub_f16_e32 v22, v61, v72
	v_mul_f16_e32 v61, 0x3924, v24
	v_fmamk_f16 v62, v26, 0x3a21, v15
	v_fmamk_f16 v63, v45, 0x3a21, v44
	v_add_f16_e32 v73, v48, v15
	v_add_f16_e32 v74, v49, v44
	v_mul_f16_e32 v78, 0x3be1, v50
	v_fmac_f16_e32 v77, 0x3579, v16
	v_add_f16_e32 v16, v17, v15
	v_add_f16_e32 v17, v18, v44
	v_fmac_f16_e32 v15, 0x3a21, v46
	v_fmac_f16_e32 v44, 0x3a21, v47
	;; [unrolled: 1-line block ×8, first 2 shown]
	v_fma_f16 v78, v22, 0xb924, -v78
	v_fmac_f16_e32 v15, 0x318f, v51
	v_fmac_f16_e32 v44, 0x318f, v52
	v_add_f16_e32 v72, v50, v24
	v_fmac_f16_e32 v67, 0xbaee, v21
	v_fmac_f16_e32 v69, -0.5, v48
	v_fmac_f16_e32 v70, -0.5, v49
	v_fmac_f16_e32 v61, 0x3aee, v21
	v_fmac_f16_e32 v62, -0.5, v48
	v_fmac_f16_e32 v63, -0.5, v49
	;; [unrolled: 3-line block ×3, first 2 shown]
	v_sub_f16_e32 v72, v72, v22
	v_fmac_f16_e32 v73, -0.5, v79
	v_fmac_f16_e32 v74, -0.5, v80
	v_fmac_f16_e32 v67, 0x3579, v22
	v_fmac_f16_e32 v69, 0xbb84, v46
	;; [unrolled: 1-line block ×10, first 2 shown]
	v_mul_f16_e32 v81, 0x3aee, v71
	v_mul_f16_e32 v82, 0x3aee, v72
	v_fmac_f16_e32 v73, 0x3aee, v72
	v_fmac_f16_e32 v74, 0xbaee, v71
	v_add_f16_e32 v20, v67, v69
	v_sub_f16_e32 v21, v70, v65
	v_add_f16_e32 v18, v61, v62
	v_sub_f16_e32 v19, v63, v57
	;; [unrolled: 2-line block ×3, first 2 shown]
	v_fma_f16 v22, -2.0, v82, v73
	v_fma_f16 v24, 2.0, v81, v74
	v_fma_f16 v45, -2.0, v67, v20
	v_fma_f16 v47, 2.0, v65, v21
	;; [unrolled: 2-line block ×3, first 2 shown]
	v_pack_b32_f16 v16, v16, v17
	v_pack_b32_f16 v17, v18, v19
	;; [unrolled: 1-line block ×3, first 2 shown]
	v_fma_f16 v19, -2.0, v78, v15
	v_fma_f16 v20, 2.0, v77, v44
	v_pack_b32_f16 v46, v73, v74
	v_pack_b32_f16 v21, v22, v24
	v_pack_b32_f16 v22, v45, v47
	v_pack_b32_f16 v24, v25, v26
	v_pack_b32_f16 v15, v15, v44
	v_pack_b32_f16 v19, v19, v20
	ds_store_2addr_b32 v43, v16, v17 offset1:17
	ds_store_2addr_b32 v43, v18, v46 offset0:34 offset1:51
	ds_store_2addr_b32 v43, v21, v22 offset0:102 offset1:119
	ds_store_b32 v43, v24 offset:544
	ds_store_2addr_b32 v43, v15, v19 offset0:68 offset1:85
	global_wb scope:SCOPE_SE
	s_wait_dscnt 0x0
	s_barrier_signal -1
	s_barrier_wait -1
	global_inv scope:SCOPE_SE
	ds_load_2addr_b32 v[17:18], v32 offset1:102
	ds_load_2addr_b32 v[21:22], v29 offset0:75 offset1:177
	ds_load_2addr_b32 v[15:16], v27 offset0:76 offset1:178
	;; [unrolled: 1-line block ×3, first 2 shown]
	s_and_saveexec_b32 s1, s0
	s_cbranch_execz .LBB0_9
; %bb.8:
	ds_load_b32 v25, v32 offset:1632
	ds_load_b32 v30, v32 offset:3468
	s_wait_dscnt 0x1
	v_lshrrev_b32_e32 v26, 16, v25
	s_wait_dscnt 0x0
	v_lshrrev_b32_e32 v31, 16, v30
.LBB0_9:
	s_wait_alu 0xfffe
	s_or_b32 exec_lo, exec_lo, s1
	v_add_nc_u32_e32 v45, 0x198, v33
	v_add_co_u32 v27, s1, 0x66, v33
	v_add_nc_u32_e32 v44, 0x132, v33
	s_wait_alu 0xf1ff
	v_add_co_ci_u32_e64 v24, null, 0, 0, s1
	v_add_co_u32 v28, s1, 0xffffffcd, v33
	s_wait_alu 0xf1ff
	v_add_co_ci_u32_e64 v29, null, 0, -1, s1
	v_and_b32_e32 v47, 0xffff, v45
	v_and_b32_e32 v46, 0xffff, v44
	v_cndmask_b32_e64 v51, v28, v27, s0
	s_delay_alu instid0(VALU_DEP_4)
	v_cndmask_b32_e64 v52, v29, v24, s0
	global_load_b32 v49, v32, s[2:3] offset:544
	v_mul_u32_u24_e32 v29, 0x358b, v47
	global_load_b32 v47, v32, s[2:3] offset:748
	v_mul_u32_u24_e32 v24, 0x358b, v46
	s_wait_dscnt 0x0
	v_lshrrev_b32_e32 v65, 16, v19
	v_lshrrev_b32_e32 v66, 16, v15
	;; [unrolled: 1-line block ×3, first 2 shown]
	v_lshlrev_b64_e32 v[28:29], 2, v[51:52]
	v_lshrrev_b32_e32 v24, 21, v24
	v_lshrrev_b32_e32 v52, 16, v21
	;; [unrolled: 1-line block ×3, first 2 shown]
	v_mul_lo_u16 v46, 0x99, v46
	v_lshrrev_b32_e32 v68, 16, v20
	v_mul_lo_u16 v24, 0x99, v24
	v_add_co_u32 v28, s1, s2, v28
	s_wait_alu 0xf1ff
	v_add_co_ci_u32_e64 v29, s1, s3, v29, s1
	v_sub_nc_u16 v45, v45, v46
	v_sub_nc_u16 v24, v44, v24
	v_cmp_lt_u16_e64 s1, 50, v33
	global_load_b32 v50, v[28:29], off offset:544
	v_lshrrev_b32_e32 v61, 16, v18
	v_and_b32_e32 v28, 0xffff, v45
	v_and_b32_e32 v24, 0xffff, v24
	s_wait_alu 0xf1ff
	v_cndmask_b32_e64 v69, 0, 0x132, s1
	v_lshrrev_b32_e32 v67, 16, v16
	v_lshlrev_b32_e32 v44, 2, v28
	v_lshlrev_b32_e32 v46, 2, v24
	s_clause 0x1
	global_load_b32 v45, v44, s[2:3] offset:544
	global_load_b32 v48, v46, s[2:3] offset:544
	v_add_lshl_u32 v51, v51, v69, 2
	v_lshrrev_b32_e32 v24, 16, v17
	v_add_co_u32 v28, s1, s2, v32
	s_wait_alu 0xf1ff
	v_add_co_ci_u32_e64 v29, null, s3, 0, s1
	global_wb scope:SCOPE_SE
	s_wait_loadcnt 0x0
	s_barrier_signal -1
	s_barrier_wait -1
	global_inv scope:SCOPE_SE
	v_lshrrev_b32_e32 v62, 16, v49
	v_lshrrev_b32_e32 v57, 16, v47
	s_delay_alu instid0(VALU_DEP_2) | instskip(SKIP_1) | instid1(VALU_DEP_3)
	v_mul_f16_e32 v69, v52, v62
	v_mul_f16_e32 v70, v21, v62
	;; [unrolled: 1-line block ×4, first 2 shown]
	s_delay_alu instid0(VALU_DEP_4) | instskip(NEXT) | instid1(VALU_DEP_4)
	v_fma_f16 v21, v21, v49, -v69
	v_fmac_f16_e32 v70, v52, v49
	s_delay_alu instid0(VALU_DEP_4) | instskip(NEXT) | instid1(VALU_DEP_4)
	v_fmac_f16_e32 v72, v65, v47
	v_fma_f16 v19, v19, v47, -v71
	s_delay_alu instid0(VALU_DEP_4) | instskip(NEXT) | instid1(VALU_DEP_4)
	v_sub_f16_e32 v21, v17, v21
	v_sub_f16_e32 v52, v24, v70
	s_delay_alu instid0(VALU_DEP_4) | instskip(NEXT) | instid1(VALU_DEP_4)
	v_sub_f16_e32 v69, v66, v72
	v_sub_f16_e32 v19, v15, v19
	s_delay_alu instid0(VALU_DEP_4)
	v_fma_f16 v17, v17, 2.0, -v21
	v_lshrrev_b32_e32 v65, 16, v50
	v_fma_f16 v24, v24, 2.0, -v52
	v_pack_b32_f16 v21, v21, v52
	v_fma_f16 v71, v66, 2.0, -v69
	v_fma_f16 v15, v15, 2.0, -v19
	v_mul_f16_e32 v52, v22, v65
	v_mul_f16_e32 v70, v63, v65
	v_pack_b32_f16 v17, v17, v24
	v_pack_b32_f16 v19, v19, v69
	v_pack_b32_f16 v15, v15, v71
	v_fmac_f16_e32 v52, v63, v50
	v_fma_f16 v22, v22, v50, -v70
	v_lshrrev_b32_e32 v66, 16, v48
	s_delay_alu instid0(VALU_DEP_3) | instskip(SKIP_1) | instid1(VALU_DEP_3)
	v_sub_f16_e32 v69, v61, v52
	v_lshrrev_b32_e32 v52, 16, v45
	v_mul_f16_e32 v24, v68, v66
	v_mul_f16_e32 v63, v20, v66
	v_sub_f16_e32 v22, v18, v22
	s_delay_alu instid0(VALU_DEP_3) | instskip(NEXT) | instid1(VALU_DEP_3)
	v_fma_f16 v20, v20, v48, -v24
	v_fmac_f16_e32 v63, v68, v48
	v_fma_f16 v24, v61, 2.0, -v69
	v_mul_f16_e32 v61, v31, v52
	v_mul_f16_e32 v68, v30, v52
	v_sub_f16_e32 v20, v16, v20
	v_sub_f16_e32 v63, v67, v63
	v_fma_f16 v18, v18, 2.0, -v22
	v_fma_f16 v30, v30, v45, -v61
	v_fmac_f16_e32 v68, v31, v45
	v_fma_f16 v16, v16, 2.0, -v20
	v_fma_f16 v31, v67, 2.0, -v63
	v_pack_b32_f16 v18, v18, v24
	v_sub_f16_e32 v24, v25, v30
	v_sub_f16_e32 v73, v26, v68
	v_pack_b32_f16 v22, v22, v69
	v_pack_b32_f16 v20, v20, v63
	;; [unrolled: 1-line block ×3, first 2 shown]
	v_add_nc_u32_e32 v30, 0x800, v46
	ds_store_2addr_b32 v32, v17, v21 offset1:153
	ds_store_2addr_b32 v51, v18, v22 offset1:153
	ds_store_2addr_b32 v23, v15, v19 offset0:101 offset1:254
	ds_store_2addr_b32 v30, v16, v20 offset0:100 offset1:253
	s_and_saveexec_b32 s1, s0
	s_cbranch_execz .LBB0_11
; %bb.10:
	v_fma_f16 v15, v25, 2.0, -v24
	v_fma_f16 v16, v26, 2.0, -v73
	v_perm_b32 v17, v73, v24, 0x5040100
	s_delay_alu instid0(VALU_DEP_2)
	v_pack_b32_f16 v15, v15, v16
	v_add_nc_u32_e32 v16, 0x800, v44
	ds_store_2addr_b32 v16, v15, v17 offset0:100 offset1:253
.LBB0_11:
	s_wait_alu 0xfffe
	s_or_b32 exec_lo, exec_lo, s1
	v_add_co_u32 v15, s1, v28, v32
	s_wait_alu 0xf1ff
	v_add_co_ci_u32_e64 v16, s1, 0, v29, s1
	v_lshlrev_b32_e32 v17, 3, v27
	v_lshl_add_u32 v21, v33, 3, 0x660
	global_wb scope:SCOPE_SE
	s_wait_dscnt 0x0
	s_barrier_signal -1
	s_barrier_wait -1
	global_inv scope:SCOPE_SE
	s_clause 0x2
	global_load_b64 v[19:20], v[15:16], off offset:1156
	global_load_b64 v[17:18], v17, s[2:3] offset:1156
	global_load_b64 v[15:16], v21, s[2:3] offset:1156
	v_add_nc_u32_e32 v82, 0x200, v32
	v_add_nc_u32_e32 v23, 0x800, v32
	;; [unrolled: 1-line block ×3, first 2 shown]
	ds_load_2addr_b32 v[25:26], v32 offset1:102
	ds_load_b32 v31, v32 offset:3264
	ds_load_2addr_b32 v[27:28], v82 offset0:76 offset1:178
	ds_load_2addr_b32 v[21:22], v23 offset0:100 offset1:202
	;; [unrolled: 1-line block ×3, first 2 shown]
	s_wait_dscnt 0x3
	v_lshrrev_b32_e32 v71, 16, v31
	s_wait_dscnt 0x2
	v_lshrrev_b32_e32 v77, 16, v28
	;; [unrolled: 2-line block ×4, first 2 shown]
	v_lshrrev_b32_e32 v80, 16, v22
	v_lshrrev_b32_e32 v81, 16, v30
	;; [unrolled: 1-line block ×5, first 2 shown]
	s_wait_loadcnt 0x2
	v_lshrrev_b32_e32 v70, 16, v19
	v_lshrrev_b32_e32 v69, 16, v20
	s_wait_loadcnt 0x1
	v_lshrrev_b32_e32 v68, 16, v17
	v_lshrrev_b32_e32 v67, 16, v18
	s_wait_loadcnt 0x0
	v_lshrrev_b32_e32 v63, 16, v15
	v_lshrrev_b32_e32 v61, 16, v16
	v_mul_f16_e32 v83, v77, v70
	v_mul_f16_e32 v84, v28, v70
	;; [unrolled: 1-line block ×12, first 2 shown]
	v_fma_f16 v28, v28, v19, -v83
	v_fmac_f16_e32 v84, v77, v19
	v_fma_f16 v21, v21, v20, -v85
	v_fmac_f16_e32 v86, v78, v20
	;; [unrolled: 2-line block ×6, first 2 shown]
	v_add_f16_e32 v77, v28, v21
	v_sub_f16_e32 v78, v84, v86
	v_add_f16_e32 v79, v76, v84
	v_add_f16_e32 v80, v84, v86
	v_add_f16_e32 v84, v29, v22
	v_sub_f16_e32 v85, v88, v90
	v_add_f16_e32 v87, v75, v88
	v_add_f16_e32 v88, v88, v90
	v_add_f16_e32 v93, v30, v31
	v_sub_f16_e32 v95, v92, v94
	v_add_f16_e32 v96, v74, v92
	v_add_f16_e32 v92, v92, v94
	v_add_f16_e32 v71, v25, v28
	v_add_f16_e32 v81, v26, v29
	v_sub_f16_e32 v83, v28, v21
	v_sub_f16_e32 v89, v29, v22
	v_fma_f16 v28, -0.5, v77, v25
	v_fmac_f16_e32 v76, -0.5, v80
	v_fmac_f16_e32 v26, -0.5, v84
	;; [unrolled: 1-line block ×3, first 2 shown]
	v_add_f16_e32 v91, v27, v30
	v_sub_f16_e32 v97, v30, v31
	v_fmac_f16_e32 v27, -0.5, v93
	v_fmac_f16_e32 v74, -0.5, v92
	v_add_f16_e32 v21, v71, v21
	v_add_f16_e32 v71, v79, v86
	;; [unrolled: 1-line block ×4, first 2 shown]
	v_fmamk_f16 v22, v78, 0x3aee, v28
	v_fmac_f16_e32 v28, 0xbaee, v78
	v_fmamk_f16 v81, v83, 0xbaee, v76
	v_fmac_f16_e32 v76, 0x3aee, v83
	;; [unrolled: 2-line block ×4, first 2 shown]
	v_add_f16_e32 v30, v91, v31
	v_add_f16_e32 v77, v96, v94
	v_fmamk_f16 v31, v95, 0x3aee, v27
	v_fmamk_f16 v78, v97, 0xbaee, v74
	v_fmac_f16_e32 v27, 0xbaee, v95
	v_fmac_f16_e32 v74, 0x3aee, v97
	v_pack_b32_f16 v83, v21, v71
	v_pack_b32_f16 v84, v29, v79
	;; [unrolled: 1-line block ×9, first 2 shown]
	ds_store_2addr_b32 v32, v83, v84 offset1:102
	ds_store_2addr_b32 v23, v87, v88 offset0:100 offset1:202
	ds_store_2addr_b32 v82, v85, v86 offset0:76 offset1:178
	;; [unrolled: 1-line block ×3, first 2 shown]
	ds_store_b32 v32, v91 offset:3264
	global_wb scope:SCOPE_SE
	s_wait_dscnt 0x0
	s_barrier_signal -1
	s_barrier_wait -1
	global_inv scope:SCOPE_SE
	s_and_saveexec_b32 s1, vcc_lo
	s_cbranch_execz .LBB0_13
; %bb.12:
	global_load_b32 v82, v32, s[8:9] offset:3672
	s_add_nc_u64 s[2:3], s[8:9], 0xe58
	s_clause 0xf
	global_load_b32 v98, v32, s[2:3] offset:216
	global_load_b32 v99, v32, s[2:3] offset:432
	;; [unrolled: 1-line block ×16, first 2 shown]
	ds_load_b32 v83, v32
	v_add_nc_u32_e32 v114, 0x600, v32
	v_add_nc_u32_e32 v115, 0xc00, v32
	s_wait_dscnt 0x0
	v_lshrrev_b32_e32 v84, 16, v83
	s_wait_loadcnt 0xf
	v_lshrrev_b32_e32 v116, 16, v98
	s_wait_loadcnt 0xe
	;; [unrolled: 2-line block ×12, first 2 shown]
	v_lshrrev_b32_e32 v127, 16, v109
	v_lshrrev_b32_e32 v85, 16, v82
	s_wait_loadcnt 0x3
	v_lshrrev_b32_e32 v128, 16, v110
	s_wait_loadcnt 0x2
	;; [unrolled: 2-line block ×4, first 2 shown]
	v_lshrrev_b32_e32 v131, 16, v113
	v_mul_f16_e32 v86, v84, v85
	v_mul_f16_e32 v85, v83, v85
	s_delay_alu instid0(VALU_DEP_2) | instskip(NEXT) | instid1(VALU_DEP_2)
	v_fma_f16 v83, v83, v82, -v86
	v_fmac_f16_e32 v85, v84, v82
	s_delay_alu instid0(VALU_DEP_1)
	v_pack_b32_f16 v82, v83, v85
	ds_store_b32 v32, v82
	ds_load_2addr_b32 v[82:83], v32 offset0:54 offset1:108
	ds_load_2addr_b32 v[84:85], v32 offset0:162 offset1:216
	;; [unrolled: 1-line block ×8, first 2 shown]
	s_wait_dscnt 0x7
	v_lshrrev_b32_e32 v132, 16, v82
	v_lshrrev_b32_e32 v134, 16, v83
	s_wait_dscnt 0x6
	v_lshrrev_b32_e32 v136, 16, v84
	v_lshrrev_b32_e32 v138, 16, v85
	;; [unrolled: 3-line block ×5, first 2 shown]
	v_mul_f16_e64 v133, v82, v116
	v_mul_f16_e64 v135, v83, v117
	s_wait_dscnt 0x2
	v_lshrrev_b32_e32 v152, 16, v92
	v_lshrrev_b32_e32 v154, 16, v93
	s_wait_dscnt 0x1
	v_lshrrev_b32_e32 v156, 16, v94
	v_lshrrev_b32_e32 v158, 16, v95
	;; [unrolled: 3-line block ×3, first 2 shown]
	v_mul_f16_e64 v116, v132, v116
	v_mul_f16_e64 v117, v134, v117
	;; [unrolled: 1-line block ×24, first 2 shown]
	v_fmac_f16_e64 v133, v132, v98
	v_fmac_f16_e64 v135, v134, v99
	v_mul_f16_e64 v126, v152, v126
	v_mul_f16_e64 v127, v154, v127
	;; [unrolled: 1-line block ×6, first 2 shown]
	v_fma_f16 v82, v82, v98, -v116
	v_fma_f16 v83, v83, v99, -v117
	v_fmac_f16_e64 v137, v136, v100
	v_fmac_f16_e64 v139, v138, v101
	v_fma_f16 v84, v84, v100, -v118
	v_fma_f16 v85, v85, v101, -v119
	v_fmac_f16_e64 v141, v140, v102
	v_fmac_f16_e64 v143, v142, v103
	;; [unrolled: 4-line block ×5, first 2 shown]
	v_fmac_f16_e64 v157, v156, v110
	v_fmac_f16_e64 v159, v158, v111
	;; [unrolled: 1-line block ×4, first 2 shown]
	v_fma_f16 v92, v92, v108, -v126
	v_fma_f16 v93, v93, v109, -v127
	;; [unrolled: 1-line block ×6, first 2 shown]
	v_pack_b32_f16 v82, v82, v133
	v_pack_b32_f16 v83, v83, v135
	;; [unrolled: 1-line block ×16, first 2 shown]
	ds_store_2addr_b32 v32, v82, v83 offset0:54 offset1:108
	ds_store_2addr_b32 v32, v84, v85 offset0:162 offset1:216
	ds_store_2addr_b32 v72, v86, v87 offset0:14 offset1:68
	ds_store_2addr_b32 v72, v88, v89 offset0:122 offset1:176
	ds_store_2addr_b32 v114, v90, v91 offset0:102 offset1:156
	ds_store_2addr_b32 v23, v92, v93 offset0:82 offset1:136
	ds_store_2addr_b32 v23, v94, v95 offset0:190 offset1:244
	ds_store_2addr_b32 v115, v96, v97 offset0:42 offset1:96
.LBB0_13:
	s_wait_alu 0xfffe
	s_or_b32 exec_lo, exec_lo, s1
	global_wb scope:SCOPE_SE
	s_wait_dscnt 0x0
	s_barrier_signal -1
	s_barrier_wait -1
	global_inv scope:SCOPE_SE
	s_and_saveexec_b32 s1, vcc_lo
	s_cbranch_execz .LBB0_15
; %bb.14:
	v_add_nc_u32_e32 v9, 0x200, v32
	v_add_nc_u32_e32 v10, 0x400, v32
	ds_load_2addr_b32 v[21:22], v32 offset1:54
	ds_load_2addr_b32 v[28:29], v32 offset0:108 offset1:162
	ds_load_2addr_b32 v[25:26], v9 offset0:88 offset1:142
	v_add_nc_u32_e32 v9, 0x800, v32
	ds_load_2addr_b32 v[30:31], v10 offset0:68 offset1:122
	ds_load_2addr_b32 v[23:24], v10 offset0:176 offset1:230
	v_add_nc_u32_e32 v10, 0xa00, v32
	ds_load_2addr_b32 v[13:14], v9 offset0:28 offset1:82
	ds_load_2addr_b32 v[11:12], v9 offset0:136 offset1:190
	;; [unrolled: 1-line block ×3, first 2 shown]
	ds_load_b32 v35, v32 offset:3456
	s_wait_dscnt 0x8
	v_lshrrev_b32_e32 v71, 16, v21
	v_lshrrev_b32_e32 v81, 16, v22
	s_wait_dscnt 0x7
	v_lshrrev_b32_e32 v76, 16, v28
	v_lshrrev_b32_e32 v79, 16, v29
	s_wait_dscnt 0x4
	v_mov_b32_e32 v27, v23
	v_lshrrev_b32_e32 v80, 16, v25
	v_lshrrev_b32_e32 v75, 16, v26
	;; [unrolled: 1-line block ×6, first 2 shown]
	s_wait_dscnt 0x3
	v_lshrrev_b32_e32 v42, 16, v13
	v_lshrrev_b32_e32 v41, 16, v14
	s_wait_dscnt 0x2
	v_lshrrev_b32_e32 v40, 16, v11
	v_lshrrev_b32_e32 v38, 16, v12
	;; [unrolled: 3-line block ×3, first 2 shown]
	s_wait_dscnt 0x0
	v_lshrrev_b32_e32 v39, 16, v35
.LBB0_15:
	s_wait_alu 0xfffe
	s_or_b32 exec_lo, exec_lo, s1
	s_delay_alu instid0(VALU_DEP_1)
	v_sub_f16_e32 v109, v81, v39
	v_add_f16_e32 v116, v39, v81
	v_add_f16_e32 v82, v35, v22
	v_sub_f16_e32 v85, v22, v35
	v_sub_f16_e32 v111, v76, v36
	v_mul_f16_e32 v98, 0xb1e1, v109
	v_mul_f16_e32 v101, 0xbbdd, v116
	v_add_f16_e32 v118, v36, v76
	v_add_f16_e32 v83, v10, v28
	v_sub_f16_e32 v88, v28, v10
	v_fma_f16 v23, v82, 0xbbdd, -v98
	v_fmamk_f16 v72, v85, 0xb1e1, v101
	v_mul_f16_e32 v99, 0x35c8, v111
	v_mul_f16_e32 v104, 0x3b76, v118
	v_sub_f16_e32 v106, v79, v37
	v_add_f16_e32 v119, v37, v79
	v_add_f16_e32 v23, v21, v23
	;; [unrolled: 1-line block ×3, first 2 shown]
	v_fma_f16 v86, v83, 0x3b76, -v99
	v_fmamk_f16 v89, v88, 0x35c8, v104
	v_add_f16_e32 v84, v9, v29
	v_mul_f16_e32 v100, 0xb836, v106
	v_sub_f16_e32 v87, v29, v9
	v_mul_f16_e32 v115, 0xbacd, v119
	v_sub_f16_e32 v107, v80, v38
	v_add_f16_e32 v121, v38, v80
	v_add_f16_e32 v23, v86, v23
	;; [unrolled: 1-line block ×3, first 2 shown]
	v_fma_f16 v90, v84, 0xbacd, -v100
	v_fmamk_f16 v91, v87, 0xb836, v115
	v_add_f16_e32 v86, v12, v25
	v_sub_f16_e32 v89, v25, v12
	v_mul_f16_e32 v102, 0x3964, v107
	v_mul_f16_e32 v108, 0x39e9, v121
	v_sub_f16_e32 v110, v75, v40
	v_add_f16_e32 v123, v40, v75
	v_add_f16_e32 v23, v90, v23
	;; [unrolled: 1-line block ×3, first 2 shown]
	v_fma_f16 v91, v86, 0x39e9, -v102
	v_fmamk_f16 v93, v89, 0x3964, v108
	v_add_f16_e32 v90, v11, v26
	v_mul_f16_e32 v103, 0xba62, v110
	v_sub_f16_e32 v92, v26, v11
	v_mul_f16_e32 v124, 0xb8d2, v123
	v_sub_f16_e32 v112, v77, v41
	v_add_f16_e32 v127, v41, v77
	v_add_f16_e32 v23, v91, v23
	;; [unrolled: 1-line block ×3, first 2 shown]
	v_fma_f16 v94, v90, 0xb8d2, -v103
	v_fmamk_f16 v95, v92, 0xba62, v124
	v_add_f16_e32 v91, v14, v30
	v_sub_f16_e32 v93, v30, v14
	v_mul_f16_e32 v105, 0x3b29, v112
	v_mul_f16_e32 v126, 0x3722, v127
	v_sub_f16_e32 v113, v78, v42
	v_add_f16_e32 v120, v42, v78
	v_add_f16_e32 v23, v94, v23
	;; [unrolled: 1-line block ×3, first 2 shown]
	v_fma_f16 v95, v91, 0x3722, -v105
	v_fmamk_f16 v97, v93, 0x3b29, v126
	v_add_f16_e32 v94, v13, v31
	v_mul_f16_e32 v122, 0xbbb2, v113
	v_sub_f16_e32 v96, v31, v13
	v_mul_f16_e64 v128, 0xb461, v120
	v_sub_f16_e32 v114, v74, v73
	v_add_f16_e32 v117, v73, v74
	v_add_f16_e32 v23, v95, v23
	;; [unrolled: 1-line block ×3, first 2 shown]
	v_fma_f16 v130, v94, 0xb461, -v122
	v_fma_f16 v131, 0xbbb2, v96, v128
	v_add_f16_e32 v95, v24, v27
	v_sub_f16_e32 v97, v27, v24
	v_mul_f16_e32 v125, 0x3bf7, v114
	v_mul_f16_e64 v129, 0x2de8, v117
	v_add_f16_e64 v23, v130, v23
	v_add_f16_e64 v72, v131, v72
	global_wb scope:SCOPE_SE
	v_fma_f16 v130, v95, 0x2de8, -v125
	v_fma_f16 v131, 0x3bf7, v97, v129
	s_barrier_signal -1
	s_barrier_wait -1
	global_inv scope:SCOPE_SE
	v_add_f16_e64 v23, v130, v23
	v_add_f16_e64 v72, v131, v72
	s_and_saveexec_b32 s1, vcc_lo
	s_cbranch_execz .LBB0_17
; %bb.16:
	v_mul_f16_e64 v130, 0xb1e1, v85
	v_mul_f16_e64 v133, 0x35c8, v88
	;; [unrolled: 1-line block ×5, first 2 shown]
	v_sub_f16_e64 v101, v101, v130
	v_mul_f16_e64 v130, 0xb836, v87
	v_sub_f16_e64 v104, v104, v133
	v_add_f16_e64 v98, v131, v98
	v_mul_f16_e64 v134, 0xbacd, v84
	v_add_f16_e32 v101, v71, v101
	v_sub_f16_e64 v115, v115, v130
	v_mul_f16_e64 v137, 0xba62, v92
	v_sub_f16_e64 v108, v108, v136
	v_add_f16_e64 v99, v132, v99
	v_add_f16_e32 v101, v104, v101
	v_add_f16_e32 v98, v21, v98
	v_mul_f16_e64 v135, 0x39e9, v86
	v_mul_f16_e32 v104, 0x3b29, v93
	v_sub_f16_e64 v124, v124, v137
	v_add_f16_e32 v101, v115, v101
	v_add_f16_e64 v100, v134, v100
	v_add_f16_e32 v98, v99, v98
	v_mul_f16_e64 v133, 0xb8d2, v90
	v_mul_f16_e32 v115, 0xbbb2, v96
	v_add_f16_e32 v101, v108, v101
	v_sub_f16_e32 v104, v126, v104
	v_add_f16_e64 v102, v135, v102
	v_add_f16_e32 v98, v100, v98
	v_mul_f16_e64 v138, 0xbacd, v116
	v_add_f16_e32 v101, v124, v101
	v_mul_f16_e64 v139, 0x3722, v91
	v_sub_f16_e64 v100, v128, v115
	v_add_f16_e64 v103, v133, v103
	v_add_f16_e32 v98, v102, v98
	v_add_f16_e32 v101, v104, v101
	v_mul_f16_e32 v102, 0x3bf7, v97
	v_fma_f16 v104, 0x3836, v85, v138
	v_mul_f16_e64 v128, 0x3722, v118
	v_mul_f16_e64 v130, 0xb461, v94
	v_add_f16_e32 v100, v100, v101
	v_add_f16_e32 v98, v103, v98
	v_add_f16_e64 v101, v139, v105
	v_sub_f16_e64 v102, v129, v102
	v_add_f16_e32 v103, v71, v104
	v_fma_f16 v104, 0xbb29, v88, v128
	v_mul_f16_e64 v129, 0x2de8, v119
	v_mul_f16_e32 v99, 0x2de8, v95
	v_add_f16_e32 v101, v101, v98
	v_add_f16_e64 v105, v130, v122
	v_add_f16_e32 v98, v102, v100
	v_add_f16_e32 v100, v104, v103
	v_fma_f16 v102, 0x3bf7, v87, v129
	v_mul_f16_e64 v130, 0xb8d2, v121
	v_add_f16_e32 v101, v105, v101
	v_add_f16_e32 v99, v99, v125
	v_mul_f16_e64 v146, 0xb836, v109
	v_add_f16_e32 v100, v102, v100
	v_fma_f16 v102, 0xba62, v89, v130
	v_mul_f16_e64 v137, 0x3b76, v123
	v_add_f16_e32 v99, v99, v101
	v_fma_f16 v101, 0xbacd, v82, v146
	v_mul_f16_e64 v147, 0x3b29, v111
	v_add_f16_e32 v100, v102, v100
	v_fma_f16 v102, 0x35c8, v92, v137
	v_mul_f16_e64 v139, 0xbbdd, v127
	v_add_f16_e32 v101, v21, v101
	v_fma_f16 v103, 0x3722, v83, v147
	v_mul_f16_e64 v148, 0xbbf7, v106
	v_add_f16_e32 v100, v102, v100
	v_fma_f16 v102, 0x31e1, v93, v139
	v_mul_f16_e64 v140, 0x39e9, v120
	v_add_f16_e32 v101, v103, v101
	v_fma_f16 v103, 0x2de8, v84, v148
	v_mul_f16_e64 v152, 0x3a62, v107
	v_add_f16_e32 v100, v102, v100
	v_fma_f16 v102, 0xb964, v96, v140
	v_mul_f16_e64 v136, 0xb461, v117
	v_add_f16_e32 v101, v103, v101
	v_fma_f16 v103, 0xb8d2, v86, v152
	v_mul_f16_e64 v154, 0xb5c8, v110
	v_add_f16_e32 v100, v102, v100
	v_fma_f16 v102, 0x3bb2, v97, v136
	v_mul_f16_e64 v131, 0xb8d2, v116
	v_add_f16_e32 v101, v103, v101
	v_fma_f16 v103, 0x3b76, v90, v154
	v_mul_f16_e64 v162, 0xb1e1, v112
	v_add_f16_e32 v100, v102, v100
	v_fma_f16 v102, 0x3a62, v85, v131
	v_mul_f16_e32 v124, 0xb461, v118
	v_add_f16_e32 v101, v103, v101
	v_fma_f16 v103, 0xbbdd, v91, v162
	v_mul_f16_e64 v164, 0x3964, v113
	v_add_f16_e32 v102, v71, v102
	v_fmamk_f16 v104, v88, 0xbbb2, v124
	v_mul_f16_e32 v125, 0x3b76, v119
	v_add_f16_e32 v101, v103, v101
	v_fma_f16 v103, 0x39e9, v94, v164
	v_mul_f16_e64 v142, 0xbbb2, v114
	v_add_f16_e32 v102, v104, v102
	v_fmamk_f16 v104, v87, 0x35c8, v125
	;; [unrolled: 6-line block ×3, first 2 shown]
	v_mul_f16_e64 v132, 0x2de8, v123
	v_add_f16_e32 v101, v103, v101
	v_fma_f16 v103, 0xb8d2, v82, v161
	v_mul_f16_e64 v163, 0x3bb2, v111
	v_add_f16_e32 v102, v104, v102
	v_fma_f16 v104, 0xbbf7, v92, v132
	;; [unrolled: 3-line block ×36, first 2 shown]
	v_mul_f16_e64 v188, 0xb8d2, v120
	v_add_f16_e64 v115, v144, v115
	v_fma_f16 v144, 0xb461, v84, v195
	v_mul_f16_e64 v199, 0x35c8, v107
	v_add_f16_e32 v108, v122, v108
	v_fma_f16 v122, 0xba62, v96, v188
	v_mul_f16_e64 v183, 0x39e9, v117
	v_add_f16_e64 v115, v144, v115
	v_fma_f16 v144, 0x3b76, v86, v199
	v_mul_f16_e64 v200, 0xbb29, v110
	v_add_f16_e32 v108, v122, v108
	v_fma_f16 v122, 0xb964, v97, v183
	;; [unrolled: 6-line block ×4, first 2 shown]
	v_mul_f16_e64 v166, 0xbbdd, v119
	v_add_f16_e64 v115, v144, v115
	v_fma_f16 v144, 0xb8d2, v94, v209
	v_mul_f16_e64 v190, 0x3964, v114
	v_add_f16_e64 v122, v167, v122
	v_fma_f16 v174, 0xb1e1, v87, v166
	;; [unrolled: 3-line block ×29, first 2 shown]
	v_mul_f16_e32 v118, 0x3bb2, v112
	v_add_f16_e64 v213, v71, v213
	v_fma_f16 v224, 0x3964, v88, v210
	v_mul_f16_e64 v212, 0x3722, v119
	v_add_f16_e64 v214, v214, v116
	v_fma_f16 v225, 0xb461, v91, v118
	v_mul_f16_e32 v119, 0x3b29, v113
	v_add_f16_e64 v224, v224, v213
	v_fma_f16 v226, 0x3b29, v87, v212
	v_mul_f16_e64 v213, 0x2de8, v121
	v_mul_f16_e32 v116, 0x3b76, v117
	v_add_f16_e64 v225, v225, v214
	v_fma_f16 v227, 0x3722, v94, v119
	v_add_f16_e64 v224, v226, v224
	v_fma_f16 v226, 0x3bf7, v89, v213
	v_mul_f16_e64 v214, 0xb461, v123
	v_mul_f16_e32 v121, 0x35c8, v114
	v_fmamk_f16 v123, v97, 0xb5c8, v116
	v_add_f16_e64 v225, v227, v225
	v_add_f16_e64 v224, v226, v224
	v_fma_f16 v226, 0x3bb2, v92, v214
	v_mul_f16_e32 v127, 0xb8d2, v127
	v_fma_f16 v227, 0x3b76, v95, v121
	v_mul_f16_e64 v228, 0xb5c8, v109
	v_add_f16_e32 v22, v22, v21
	v_add_f16_e64 v109, v123, v223
	v_add_f16_e64 v223, v226, v224
	v_fma_f16 v224, 0x3a62, v93, v127
	v_add_f16_e64 v123, v227, v225
	v_fma_f16 v225, 0x3b76, v82, v228
	v_mul_f16_e32 v111, 0xb964, v111
	v_add_f16_e32 v22, v28, v22
	v_add_f16_e32 v28, v81, v71
	v_add_f16_e64 v223, v224, v223
	v_add_f16_e64 v224, v21, v225
	v_fma_f16 v225, 0x39e9, v83, v111
	v_mul_f16_e32 v81, 0xbb29, v106
	v_add_f16_e32 v22, v29, v22
	v_add_f16_e32 v28, v76, v28
	v_mul_f16_e32 v76, 0xbbf7, v107
	v_add_f16_e64 v224, v225, v224
	v_fmamk_f16 v29, v84, 0x3722, v81
	v_add_f16_e32 v22, v25, v22
	v_add_f16_e32 v25, v79, v28
	v_mul_f16_e32 v79, 0xbbb2, v110
	v_fmac_f16_e64 v138, 0xb836, v85
	v_add_f16_e64 v28, v29, v224
	v_fmamk_f16 v29, v86, 0x2de8, v76
	v_add_f16_e32 v22, v26, v22
	v_add_f16_e32 v25, v80, v25
	v_fmac_f16_e64 v128, 0x3b29, v88
	v_fmac_f16_e64 v129, 0xbbf7, v87
	v_add_f16_e32 v28, v29, v28
	v_fmamk_f16 v29, v90, 0xb461, v79
	v_add_f16_e32 v22, v30, v22
	v_add_f16_e32 v25, v75, v25
	v_mul_f16_e32 v30, 0xba62, v112
	v_fmac_f16_e64 v130, 0x3a62, v89
	v_add_f16_e32 v28, v29, v28
	v_add_f16_e32 v22, v31, v22
	;; [unrolled: 1-line block ×3, first 2 shown]
	v_fmamk_f16 v29, v91, 0xb8d2, v30
	v_mul_f16_e32 v31, 0xb836, v113
	v_fmac_f16_e64 v137, 0xb5c8, v92
	v_add_f16_e32 v22, v27, v22
	v_add_f16_e32 v25, v78, v25
	;; [unrolled: 1-line block ×3, first 2 shown]
	v_fmamk_f16 v28, v94, 0xbacd, v31
	v_mul_f16_e32 v29, 0xb1e1, v114
	v_add_f16_e32 v22, v24, v22
	v_add_f16_e32 v24, v74, v25
	v_fmac_f16_e64 v139, 0xb1e1, v93
	v_add_f16_e32 v25, v28, v27
	v_fmamk_f16 v27, v95, 0xbbdd, v29
	v_add_f16_e32 v13, v13, v22
	v_add_f16_e32 v22, v73, v24
	v_add_f16_e64 v24, v71, v138
	v_fmac_f16_e64 v131, 0xba62, v85
	v_add_f16_e32 v25, v27, v25
	v_fma_f16 v27, v82, 0xbacd, -v146
	v_add_f16_e32 v13, v14, v13
	v_add_f16_e32 v14, v42, v22
	v_add_f16_e64 v22, v128, v24
	v_fmac_f16_e32 v124, 0x3bb2, v88
	v_add_f16_e32 v24, v21, v27
	v_fma_f16 v27, v83, 0x3722, -v147
	v_add_f16_e32 v11, v11, v13
	v_add_f16_e32 v13, v41, v14
	v_add_f16_e64 v14, v129, v22
	v_fmac_f16_e64 v175, 0xbbb2, v85
	v_add_f16_e32 v22, v27, v24
	v_fma_f16 v24, v84, 0x2de8, -v148
	v_add_f16_e32 v11, v12, v11
	v_add_f16_e32 v12, v40, v13
	v_add_f16_e64 v13, v130, v14
	v_fmac_f16_e64 v176, 0x3836, v88
	v_add_f16_e32 v14, v24, v22
	v_fma_f16 v22, v86, 0xb8d2, -v152
	v_add_f16_e32 v9, v9, v11
	v_add_f16_e32 v11, v38, v12
	v_add_f16_e64 v12, v137, v13
	v_fma_f16 v24, v83, 0xb461, -v163
	v_add_f16_e32 v13, v22, v14
	v_fma_f16 v14, v90, 0x3b76, -v154
	v_add_f16_e32 v9, v10, v9
	v_add_f16_e32 v10, v37, v11
	v_add_f16_e64 v11, v139, v12
	v_add_f16_e64 v22, v71, v131
	v_add_f16_e32 v12, v14, v13
	v_fma_f16 v13, v91, 0xbbdd, -v162
	v_fma_f16 v14, v82, 0xb8d2, -v161
	v_fmac_f16_e64 v177, 0x3964, v87
	v_fmac_f16_e64 v178, 0xbb29, v89
	;; [unrolled: 1-line block ×3, first 2 shown]
	v_add_f16_e32 v12, v13, v12
	v_fma_f16 v13, v94, 0x39e9, -v164
	v_add_f16_e32 v14, v21, v14
	v_fmac_f16_e64 v187, 0x3bf7, v93
	v_fmac_f16_e64 v168, 0xb5c8, v96
	v_fma_f16 v27, v82, 0xb461, -v170
	v_add_f16_e32 v12, v13, v12
	v_fma_f16 v13, v95, 0xb461, -v142
	v_add_f16_e32 v14, v24, v14
	v_add_f16_e64 v24, v71, v175
	v_fmac_f16_e64 v189, 0xbbf7, v85
	v_fmac_f16_e64 v171, 0xb1e1, v88
	v_add_f16_e32 v12, v13, v12
	v_add_f16_e32 v13, v124, v22
	v_fma_f16 v22, v84, 0x3b76, -v149
	v_add_f16_e64 v24, v176, v24
	v_add_f16_e64 v28, v71, v189
	v_add_f16_e32 v9, v35, v9
	v_fma_f16 v35, v82, 0x2de8, -v193
	v_add_f16_e32 v14, v22, v14
	v_fma_f16 v22, v86, 0xbacd, -v150
	v_add_f16_e64 v24, v177, v24
	v_add_f16_e64 v28, v171, v28
	v_fmac_f16_e64 v172, 0x3bb2, v87
	v_add_f16_e32 v10, v36, v10
	v_add_f16_e32 v14, v22, v14
	v_fma_f16 v22, v90, 0x2de8, -v151
	v_add_f16_e64 v24, v178, v24
	v_add_f16_e32 v35, v21, v35
	v_fma_f16 v36, v83, 0xbbdd, -v194
	v_add_f16_e64 v28, v172, v28
	;; [unrolled: 3-line block ×3, first 2 shown]
	v_fmac_f16_e64 v173, 0x35c8, v89
	v_add_f16_e32 v35, v36, v35
	v_fma_f16 v36, v84, 0xb461, -v195
	v_add_f16_e32 v14, v22, v14
	v_fma_f16 v22, v94, 0xbbdd, -v159
	v_add_f16_e64 v24, v187, v24
	v_add_f16_e64 v28, v173, v28
	v_fmac_f16_e64 v184, 0xbb29, v92
	v_add_f16_e32 v35, v36, v35
	v_add_f16_e32 v14, v22, v14
	v_fma_f16 v22, v95, 0x3722, -v160
	v_fma_f16 v36, v86, 0x3b76, -v199
	v_add_f16_e64 v28, v184, v28
	v_fmac_f16_e64 v185, 0xb836, v93
	v_fmac_f16_e64 v188, 0x3a62, v96
	v_add_f16_e32 v14, v22, v14
	v_add_f16_e64 v22, v168, v24
	v_add_f16_e32 v24, v21, v27
	v_fma_f16 v27, v83, 0xbacd, -v157
	v_add_f16_e32 v35, v36, v35
	v_fma_f16 v36, v90, 0x3722, -v200
	v_add_f16_e64 v28, v185, v28
	v_fmac_f16_e64 v183, 0x3964, v97
	v_add_f16_e32 v24, v27, v24
	v_fma_f16 v27, v84, 0x39e9, -v141
	v_add_f16_e32 v35, v36, v35
	v_fma_f16 v36, v91, 0xbacd, -v207
	v_add_f16_e64 v28, v188, v28
	v_fmac_f16_e64 v179, 0xbb29, v85
	;; [unrolled: 6-line block ×3, first 2 shown]
	v_add_f16_e32 v24, v27, v24
	v_fma_f16 v27, v90, 0xbbdd, -v145
	v_add_f16_e32 v35, v36, v35
	v_fma_f16 v36, v95, 0x39e9, -v190
	v_fma_f16 v38, v83, 0xb8d2, -v208
	v_fmac_f16_e64 v216, 0xb964, v85
	v_add_f16_e32 v24, v27, v24
	v_fma_f16 v27, v91, 0x2de8, -v153
	v_add_f16_e32 v35, v36, v35
	v_add_f16_e64 v36, v165, v37
	v_fma_f16 v37, v84, 0xbbdd, -v196
	v_fmac_f16_e64 v217, 0xbbf7, v88
	v_add_f16_e32 v24, v27, v24
	v_fma_f16 v27, v94, 0x3b76, -v155
	v_fmac_f16_e64 v218, 0xba62, v87
	v_fmac_f16_e64 v219, 0xb1e1, v89
	v_fmac_f16_e64 v220, 0x3836, v92
	v_fmac_f16_e64 v221, 0x3bb2, v93
	v_add_f16_e32 v24, v27, v24
	v_fma_f16 v27, v95, 0xb8d2, -v156
	v_add_f16_e32 v10, v39, v10
	v_fmac_f16_e64 v211, 0x3b29, v96
	v_fma_f16 v39, v82, 0x39e9, -v215
	v_fmac_f16_e64 v222, 0xb5c8, v85
	v_add_f16_e32 v24, v27, v24
	v_add_f16_e64 v27, v183, v28
	v_fma_f16 v28, v82, 0x3722, -v206
	v_fma_f16 v41, v82, 0x3b76, -v228
	v_add_f16_e64 v40, v71, v222
	v_fmac_f16_e64 v210, 0xb964, v88
	v_fmac_f16_e32 v125, 0xb5c8, v87
	v_add_f16_e32 v28, v21, v28
	v_fmac_f16_e64 v166, 0x31e1, v87
	v_fmac_f16_e64 v212, 0xbb29, v87
	v_add_f16_e64 v40, v210, v40
	v_add_f16_e32 v13, v125, v13
	v_add_f16_e32 v28, v38, v28
	v_add_f16_e64 v38, v71, v216
	v_fmac_f16_e32 v126, 0xb836, v89
	v_add_f16_e64 v36, v166, v36
	v_fmac_f16_e64 v167, 0x3bb2, v89
	v_add_f16_e32 v28, v37, v28
	v_fma_f16 v37, v86, 0xb461, -v197
	v_add_f16_e64 v38, v217, v38
	v_add_f16_e64 v40, v212, v40
	v_fmac_f16_e64 v213, 0xbbf7, v89
	v_mul_f16_e32 v120, 0xbacd, v120
	v_add_f16_e32 v28, v37, v28
	v_fma_f16 v37, v90, 0x39e9, -v198
	v_add_f16_e64 v38, v218, v38
	v_add_f16_e32 v13, v126, v13
	v_fmac_f16_e64 v132, 0x3bf7, v92
	v_add_f16_e64 v36, v167, v36
	v_add_f16_e32 v28, v37, v28
	v_fma_f16 v37, v91, 0x3b76, -v203
	v_add_f16_e64 v38, v219, v38
	v_fmac_f16_e64 v180, 0x3964, v92
	v_add_f16_e64 v40, v213, v40
	v_fmac_f16_e64 v214, 0xbbb2, v92
	v_add_f16_e32 v28, v37, v28
	v_fma_f16 v37, v94, 0x2de8, -v204
	v_add_f16_e64 v38, v220, v38
	v_fmamk_f16 v106, v96, 0x3836, v120
	v_mul_f16_e32 v26, 0xbbdd, v117
	v_add_f16_e64 v13, v132, v13
	v_add_f16_e32 v28, v37, v28
	v_fma_f16 v37, v95, 0xbacd, -v205
	v_add_f16_e64 v38, v221, v38
	v_fmac_f16_e64 v133, 0xb964, v93
	v_add_f16_e64 v36, v180, v36
	v_fmac_f16_e64 v181, 0xb5c8, v93
	v_add_f16_e32 v28, v37, v28
	v_add_f16_e64 v37, v211, v38
	v_add_f16_e32 v38, v21, v39
	v_fma_f16 v39, v83, 0x2de8, -v202
	v_add_f16_e32 v21, v21, v41
	v_fma_f16 v41, v83, 0x39e9, -v111
	v_add_f16_e64 v40, v214, v40
	v_fmac_f16_e32 v127, 0xba62, v93
	v_add_f16_e32 v38, v39, v38
	v_fma_f16 v39, v84, 0xb8d2, -v191
	v_add_f16_e32 v21, v41, v21
	v_fma_f16 v41, v84, 0x3722, -v81
	v_fma_f16 v30, v91, 0xb8d2, -v30
	v_add_f16_e64 v106, v106, v223
	v_add_f16_e32 v38, v39, v38
	v_fma_f16 v39, v86, 0xbbdd, -v192
	v_add_f16_e32 v21, v41, v21
	v_fma_f16 v41, v86, 0x2de8, -v76
	v_fmamk_f16 v75, v97, 0x31e1, v26
	v_fmac_f16_e64 v140, 0x3964, v96
	v_add_f16_e32 v38, v39, v38
	v_fma_f16 v39, v90, 0xbacd, -v201
	v_add_f16_e32 v21, v41, v21
	v_fma_f16 v41, v90, 0xb461, -v79
	v_add_f16_e64 v13, v133, v13
	v_fmac_f16_e64 v134, 0xb1e1, v96
	v_add_f16_e32 v38, v39, v38
	v_fma_f16 v39, v91, 0xb461, -v118
	v_add_f16_e32 v21, v41, v21
	v_add_f16_e64 v36, v181, v36
	v_fmac_f16_e64 v182, 0xbbf7, v96
	v_add_f16_e32 v40, v127, v40
	v_add_f16_e32 v38, v39, v38
	v_fma_f16 v39, v94, 0x3722, -v119
	v_fmac_f16_e32 v120, 0xb836, v96
	v_add_f16_e32 v21, v30, v21
	v_fma_f16 v30, v94, 0xbacd, -v31
	v_add_f16_e32 v75, v75, v106
	v_and_b32_e32 v34, 0xffff, v34
	v_add_f16_e64 v11, v140, v11
	v_fmac_f16_e64 v136, 0xbbb2, v97
	v_add_f16_e64 v13, v134, v13
	v_fmac_f16_e64 v135, 0x3b29, v97
	v_fmac_f16_e64 v169, 0xba62, v97
	v_fmac_f16_e32 v116, 0x35c8, v97
	v_add_f16_e32 v38, v39, v38
	v_fma_f16 v39, v95, 0x3b76, -v121
	v_add_f16_e64 v36, v182, v36
	v_fmac_f16_e64 v174, 0xb836, v97
	v_add_f16_e32 v40, v120, v40
	v_fmac_f16_e32 v26, 0xb1e1, v97
	v_add_f16_e32 v21, v30, v21
	v_fma_f16 v29, v95, 0xbbdd, -v29
	v_lshlrev_b32_e32 v30, 2, v34
	v_pack_b32_f16 v25, v25, v75
	v_pack_b32_f16 v9, v9, v10
	v_add_f16_e64 v11, v136, v11
	v_add_f16_e64 v13, v135, v13
	v_pack_b32_f16 v10, v144, v122
	v_pack_b32_f16 v34, v123, v109
	v_add_f16_e64 v22, v169, v22
	v_add_f16_e32 v31, v116, v37
	v_add_f16_e32 v37, v39, v38
	v_pack_b32_f16 v38, v105, v104
	v_pack_b32_f16 v39, v115, v108
	v_add_f16_e64 v36, v174, v36
	v_add_f16_e32 v26, v26, v40
	v_pack_b32_f16 v40, v101, v100
	v_pack_b32_f16 v41, v103, v102
	v_add_f16_e32 v21, v29, v21
	ds_store_2addr_b32 v30, v9, v25 offset1:1
	ds_store_2addr_b32 v30, v34, v10 offset0:2 offset1:3
	ds_store_2addr_b32 v30, v39, v38 offset0:4 offset1:5
	ds_store_2addr_b32 v30, v41, v40 offset0:6 offset1:7
	v_pack_b32_f16 v9, v99, v98
	v_perm_b32 v10, v72, v23, 0x5040100
	v_pack_b32_f16 v13, v14, v13
	v_pack_b32_f16 v11, v12, v11
	;; [unrolled: 1-line block ×7, first 2 shown]
	ds_store_2addr_b32 v30, v9, v10 offset0:8 offset1:9
	ds_store_2addr_b32 v30, v11, v13 offset0:10 offset1:11
	;; [unrolled: 1-line block ×4, first 2 shown]
	ds_store_b32 v30, v21 offset:64
.LBB0_17:
	s_wait_alu 0xfffe
	s_or_b32 exec_lo, exec_lo, s1
	global_wb scope:SCOPE_SE
	s_wait_dscnt 0x0
	s_barrier_signal -1
	s_barrier_wait -1
	global_inv scope:SCOPE_SE
	ds_load_2addr_b32 v[12:13], v32 offset1:102
	v_add_nc_u32_e32 v14, 0x200, v32
	v_add_nc_u32_e32 v9, 0x400, v32
	;; [unrolled: 1-line block ×3, first 2 shown]
	ds_load_b32 v26, v32 offset:3264
	ds_load_2addr_b32 v[10:11], v14 offset0:76 offset1:178
	ds_load_2addr_b32 v[21:22], v9 offset0:152 offset1:254
	;; [unrolled: 1-line block ×3, first 2 shown]
	global_wb scope:SCOPE_SE
	s_wait_dscnt 0x0
	s_barrier_signal -1
	s_barrier_wait -1
	global_inv scope:SCOPE_SE
	v_lshrrev_b32_e32 v29, 16, v13
	v_mul_f16_e32 v31, v64, v13
	v_lshrrev_b32_e32 v28, 16, v12
	v_lshrrev_b32_e32 v34, 16, v10
	s_delay_alu instid0(VALU_DEP_4)
	v_mul_f16_e32 v40, v64, v29
	v_lshrrev_b32_e32 v35, 16, v11
	v_lshrrev_b32_e32 v37, 16, v22
	v_fma_f16 v29, v0, v29, -v31
	v_mul_f16_e32 v31, v60, v10
	v_mul_f16_e32 v41, v59, v11
	v_fmac_f16_e32 v40, v0, v13
	v_mul_f16_e32 v0, v60, v34
	v_lshrrev_b32_e32 v30, 16, v26
	v_lshrrev_b32_e32 v36, 16, v21
	v_lshrrev_b32_e32 v39, 16, v25
	v_fma_f16 v13, v1, v34, -v31
	v_mul_f16_e32 v31, v59, v35
	v_fma_f16 v34, v2, v35, -v41
	v_mul_f16_e32 v41, v56, v37
	v_fmac_f16_e32 v0, v1, v10
	v_mul_f16_e32 v1, v56, v22
	v_lshrrev_b32_e32 v38, 16, v24
	v_mul_f16_e32 v35, v58, v36
	v_fmac_f16_e32 v31, v2, v11
	v_fmac_f16_e32 v41, v4, v22
	v_fma_f16 v1, v4, v37, -v1
	v_mul_f16_e32 v4, v55, v30
	v_mul_f16_e32 v10, v55, v26
	;; [unrolled: 1-line block ×6, first 2 shown]
	v_fmac_f16_e32 v35, v3, v21
	v_mul_f16_e32 v21, v53, v24
	v_fmac_f16_e32 v4, v7, v26
	v_fma_f16 v7, v7, v30, -v10
	v_fmac_f16_e32 v11, v6, v25
	v_fma_f16 v6, v6, v39, -v22
	;; [unrolled: 2-line block ×3, first 2 shown]
	v_add_f16_e32 v21, v40, v4
	v_add_f16_e32 v22, v29, v7
	;; [unrolled: 1-line block ×4, first 2 shown]
	v_fma_f16 v3, v3, v36, -v42
	v_sub_f16_e32 v4, v40, v4
	v_add_f16_e32 v26, v31, v2
	v_sub_f16_e32 v7, v29, v7
	v_add_f16_e32 v29, v34, v5
	v_add_f16_e32 v53, v24, v21
	;; [unrolled: 1-line block ×3, first 2 shown]
	v_sub_f16_e32 v0, v0, v11
	v_mul_f16_e32 v11, 0x3924, v4
	v_sub_f16_e32 v6, v13, v6
	v_mul_f16_e32 v10, 0x3924, v7
	v_sub_f16_e32 v2, v31, v2
	v_sub_f16_e32 v5, v34, v5
	;; [unrolled: 1-line block ×4, first 2 shown]
	v_add_f16_e32 v58, v26, v53
	v_add_f16_e32 v59, v29, v54
	v_fmac_f16_e32 v11, 0x3be1, v0
	v_fmac_f16_e32 v10, 0x3be1, v6
	v_add_f16_e32 v36, v35, v41
	v_add_f16_e32 v37, v3, v1
	v_mul_f16_e32 v38, 0xb924, v34
	v_mul_f16_e32 v40, 0xb924, v31
	v_add_f16_e32 v35, v35, v58
	v_add_f16_e32 v3, v3, v59
	v_fmac_f16_e32 v11, 0x3aee, v2
	v_fmac_f16_e32 v10, 0x3aee, v5
	;; [unrolled: 1-line block ×4, first 2 shown]
	v_add_f16_e32 v35, v41, v35
	v_add_f16_e32 v1, v1, v3
	v_fmamk_f16 v39, v36, 0x3a21, v12
	v_fmamk_f16 v13, v21, 0x3a21, v12
	;; [unrolled: 1-line block ×3, first 2 shown]
	v_fmac_f16_e32 v11, 0x3579, v31
	v_fmac_f16_e32 v10, 0x3579, v34
	v_fmamk_f16 v42, v37, 0x3a21, v28
	v_fmac_f16_e32 v38, 0xbaee, v5
	v_fmac_f16_e32 v40, 0xbaee, v2
	v_add_f16_e32 v55, v31, v4
	v_add_f16_e32 v56, v34, v7
	;; [unrolled: 1-line block ×4, first 2 shown]
	v_mul_f16_e32 v31, 0x3be1, v31
	v_mul_f16_e32 v34, 0x3be1, v34
	v_add_f16_e32 v35, v35, v12
	v_add_f16_e32 v1, v1, v28
	v_fmac_f16_e32 v12, 0x3a21, v24
	v_fmac_f16_e32 v28, 0x3a21, v25
	;; [unrolled: 1-line block ×5, first 2 shown]
	v_sub_f16_e32 v55, v55, v0
	v_sub_f16_e32 v56, v56, v6
	v_fma_f16 v0, v0, 0xb924, -v31
	v_fma_f16 v6, v6, 0xb924, -v34
	v_fmac_f16_e32 v12, 0x318f, v36
	v_fmac_f16_e32 v28, 0x318f, v37
	;; [unrolled: 1-line block ×3, first 2 shown]
	v_fmac_f16_e32 v39, -0.5, v26
	v_fmac_f16_e32 v13, 0x318f, v24
	v_fmac_f16_e32 v30, 0x318f, v25
	;; [unrolled: 1-line block ×4, first 2 shown]
	v_fmac_f16_e32 v12, -0.5, v26
	v_fmac_f16_e32 v28, -0.5, v29
	;; [unrolled: 1-line block ×3, first 2 shown]
	v_fmac_f16_e32 v39, 0xbb84, v24
	v_add_f16_e32 v3, v36, v53
	v_add_f16_e32 v24, v37, v54
	v_fmac_f16_e32 v13, -0.5, v26
	v_fmac_f16_e32 v30, -0.5, v29
	v_fmac_f16_e32 v0, 0x3579, v4
	v_fmac_f16_e32 v6, 0x3579, v7
	;; [unrolled: 1-line block ×5, first 2 shown]
	v_fmac_f16_e32 v59, -0.5, v3
	v_fmac_f16_e32 v60, -0.5, v24
	v_fmac_f16_e32 v13, 0xbb84, v36
	v_fmac_f16_e32 v30, 0xbb84, v37
	v_sub_f16_e32 v3, v12, v6
	v_add_f16_e32 v4, v0, v28
	v_sub_f16_e32 v39, v39, v38
	v_add_f16_e32 v42, v40, v42
	v_mul_f16_e32 v58, 0x3aee, v55
	v_mul_f16_e32 v2, 0x3aee, v56
	v_fmac_f16_e32 v59, 0xbaee, v56
	v_fmac_f16_e32 v60, 0x3aee, v55
	v_sub_f16_e32 v13, v13, v10
	v_add_f16_e32 v30, v11, v30
	v_fma_f16 v6, 2.0, v6, v3
	v_fma_f16 v0, -2.0, v0, v4
	v_fma_f16 v38, 2.0, v38, v39
	v_fma_f16 v5, -2.0, v40, v42
	;; [unrolled: 2-line block ×4, first 2 shown]
	v_pack_b32_f16 v1, v35, v1
	v_pack_b32_f16 v12, v13, v30
	;; [unrolled: 1-line block ×9, first 2 shown]
	ds_store_2addr_b32 v43, v1, v12 offset1:17
	ds_store_2addr_b32 v43, v13, v21 offset0:34 offset1:51
	ds_store_2addr_b32 v43, v3, v0 offset0:68 offset1:85
	;; [unrolled: 1-line block ×3, first 2 shown]
	ds_store_b32 v43, v5 offset:544
	v_add_nc_u32_e32 v0, 0x600, v32
	global_wb scope:SCOPE_SE
	s_wait_dscnt 0x0
	s_barrier_signal -1
	s_barrier_wait -1
	global_inv scope:SCOPE_SE
	ds_load_2addr_b32 v[2:3], v32 offset1:102
	ds_load_2addr_b32 v[6:7], v0 offset0:75 offset1:177
	ds_load_2addr_b32 v[0:1], v14 offset0:76 offset1:178
	;; [unrolled: 1-line block ×3, first 2 shown]
	s_and_saveexec_b32 s1, s0
	s_cbranch_execz .LBB0_19
; %bb.18:
	ds_load_b32 v10, v32 offset:1632
	ds_load_b32 v23, v32 offset:3468
	s_wait_dscnt 0x1
	v_lshrrev_b32_e32 v11, 16, v10
	s_wait_dscnt 0x0
	v_lshrrev_b32_e32 v72, 16, v23
.LBB0_19:
	s_wait_alu 0xfffe
	s_or_b32 exec_lo, exec_lo, s1
	s_wait_dscnt 0x2
	v_lshrrev_b32_e32 v12, 16, v6
	v_lshrrev_b32_e32 v21, 16, v7
	s_wait_dscnt 0x0
	v_lshrrev_b32_e32 v25, 16, v4
	v_mul_f16_e32 v28, v62, v6
	v_lshrrev_b32_e32 v27, 16, v5
	v_mul_f16_e32 v24, v62, v12
	v_mul_f16_e32 v29, v65, v7
	;; [unrolled: 1-line block ×3, first 2 shown]
	v_fma_f16 v12, v49, v12, -v28
	v_mul_f16_e32 v28, v57, v4
	v_fmac_f16_e32 v24, v49, v6
	v_mul_f16_e32 v6, v65, v21
	v_fmac_f16_e32 v30, v47, v4
	v_mul_f16_e32 v4, v66, v27
	v_lshrrev_b32_e32 v13, 16, v2
	v_lshrrev_b32_e32 v14, 16, v3
	v_fmac_f16_e32 v6, v50, v7
	v_fma_f16 v7, v50, v21, -v29
	v_fma_f16 v21, v47, v25, -v28
	v_mul_f16_e32 v25, v66, v5
	v_lshrrev_b32_e32 v22, 16, v0
	v_lshrrev_b32_e32 v26, 16, v1
	v_fmac_f16_e32 v4, v48, v5
	v_sub_f16_e32 v5, v3, v6
	v_fma_f16 v6, v48, v27, -v25
	v_sub_f16_e32 v24, v2, v24
	v_sub_f16_e32 v12, v13, v12
	;; [unrolled: 1-line block ×7, first 2 shown]
	v_fma_f16 v2, v2, 2.0, -v24
	v_fma_f16 v13, v13, 2.0, -v12
	;; [unrolled: 1-line block ×8, first 2 shown]
	v_pack_b32_f16 v2, v2, v13
	v_pack_b32_f16 v12, v24, v12
	;; [unrolled: 1-line block ×8, first 2 shown]
	v_add_nc_u32_e32 v6, 0x800, v46
	global_wb scope:SCOPE_SE
	s_barrier_signal -1
	s_barrier_wait -1
	global_inv scope:SCOPE_SE
	ds_store_2addr_b32 v32, v2, v12 offset1:153
	ds_store_2addr_b32 v51, v3, v5 offset1:153
	ds_store_2addr_b32 v9, v0, v7 offset0:101 offset1:254
	ds_store_2addr_b32 v6, v1, v4 offset0:100 offset1:253
	s_and_saveexec_b32 s1, s0
	s_cbranch_execz .LBB0_21
; %bb.20:
	v_mul_f16_e32 v0, v52, v72
	v_mul_f16_e32 v1, v52, v23
	s_delay_alu instid0(VALU_DEP_2) | instskip(NEXT) | instid1(VALU_DEP_2)
	v_fmac_f16_e32 v0, v45, v23
	v_fma_f16 v1, v45, v72, -v1
	s_delay_alu instid0(VALU_DEP_2) | instskip(NEXT) | instid1(VALU_DEP_2)
	v_sub_f16_e32 v0, v10, v0
	v_sub_f16_e32 v1, v11, v1
	s_delay_alu instid0(VALU_DEP_2) | instskip(NEXT) | instid1(VALU_DEP_2)
	v_fma_f16 v2, v10, 2.0, -v0
	v_fma_f16 v3, v11, 2.0, -v1
	v_pack_b32_f16 v0, v0, v1
	s_delay_alu instid0(VALU_DEP_2)
	v_pack_b32_f16 v1, v2, v3
	v_add_nc_u32_e32 v2, 0x800, v44
	ds_store_2addr_b32 v2, v1, v0 offset0:100 offset1:253
.LBB0_21:
	s_wait_alu 0xfffe
	s_or_b32 exec_lo, exec_lo, s1
	v_add_nc_u32_e32 v11, 0x200, v32
	v_add_nc_u32_e32 v0, 0x800, v32
	;; [unrolled: 1-line block ×3, first 2 shown]
	global_wb scope:SCOPE_SE
	s_wait_dscnt 0x0
	s_barrier_signal -1
	s_barrier_wait -1
	global_inv scope:SCOPE_SE
	ds_load_2addr_b32 v[2:3], v32 offset1:102
	ds_load_b32 v12, v32 offset:3264
	ds_load_2addr_b32 v[4:5], v11 offset0:76 offset1:178
	ds_load_2addr_b32 v[6:7], v0 offset0:100 offset1:202
	;; [unrolled: 1-line block ×3, first 2 shown]
	s_wait_dscnt 0x3
	v_lshrrev_b32_e32 v21, 16, v12
	s_wait_dscnt 0x2
	v_lshrrev_b32_e32 v22, 16, v5
	;; [unrolled: 2-line block ×3, first 2 shown]
	v_mul_f16_e32 v28, v70, v5
	s_wait_dscnt 0x0
	v_lshrrev_b32_e32 v24, 16, v9
	v_lshrrev_b32_e32 v25, 16, v7
	;; [unrolled: 1-line block ×3, first 2 shown]
	v_mul_f16_e32 v29, v69, v6
	v_mul_f16_e32 v30, v68, v9
	;; [unrolled: 1-line block ×3, first 2 shown]
	v_fma_f16 v22, v19, v22, -v28
	v_mul_f16_e32 v28, v69, v23
	v_fma_f16 v23, v20, v23, -v29
	v_mul_f16_e32 v29, v68, v24
	;; [unrolled: 2-line block ×3, first 2 shown]
	v_mul_f16_e32 v35, v63, v27
	v_fmac_f16_e32 v34, v19, v5
	v_fmac_f16_e32 v28, v20, v6
	v_mul_f16_e32 v5, v63, v10
	v_lshrrev_b32_e32 v13, 16, v2
	v_mul_f16_e32 v31, v67, v7
	v_fmac_f16_e32 v29, v17, v9
	v_fmac_f16_e32 v30, v18, v7
	v_mul_f16_e32 v7, v61, v21
	v_fmac_f16_e32 v35, v15, v10
	v_mul_f16_e32 v9, v61, v12
	v_add_f16_e32 v10, v34, v28
	v_fma_f16 v5, v15, v27, -v5
	v_add_f16_e32 v15, v22, v23
	v_fmac_f16_e32 v7, v16, v12
	v_add_f16_e32 v12, v2, v34
	v_fma_f16 v9, v16, v21, -v9
	v_fma_f16 v2, -0.5, v10, v2
	v_sub_f16_e32 v10, v22, v23
	v_add_f16_e32 v16, v13, v22
	v_fma_f16 v6, v18, v25, -v31
	v_fmac_f16_e32 v13, -0.5, v15
	v_sub_f16_e32 v15, v34, v28
	v_fmamk_f16 v17, v10, 0xbaee, v2
	v_fmac_f16_e32 v2, 0x3aee, v10
	v_add_f16_e32 v10, v16, v23
	v_add_f16_e32 v16, v29, v30
	v_lshrrev_b32_e32 v14, 16, v3
	v_fmamk_f16 v18, v15, 0x3aee, v13
	v_fmac_f16_e32 v13, 0xbaee, v15
	v_add_f16_e32 v15, v24, v6
	v_add_f16_e32 v19, v3, v29
	v_fmac_f16_e32 v3, -0.5, v16
	v_sub_f16_e32 v16, v24, v6
	v_add_f16_e32 v20, v14, v24
	v_fmac_f16_e32 v14, -0.5, v15
	v_sub_f16_e32 v15, v29, v30
	v_lshrrev_b32_e32 v26, 16, v4
	v_fmamk_f16 v21, v16, 0xbaee, v3
	v_fmac_f16_e32 v3, 0x3aee, v16
	v_add_f16_e32 v16, v35, v7
	v_add_f16_e32 v6, v20, v6
	v_fmamk_f16 v20, v15, 0x3aee, v14
	v_fmac_f16_e32 v14, 0xbaee, v15
	v_add_f16_e32 v15, v5, v9
	v_add_f16_e32 v22, v4, v35
	v_fmac_f16_e32 v4, -0.5, v16
	v_sub_f16_e32 v16, v5, v9
	v_add_f16_e32 v5, v26, v5
	v_fmac_f16_e32 v26, -0.5, v15
	v_sub_f16_e32 v15, v35, v7
	v_add_f16_e32 v12, v12, v28
	v_add_f16_e32 v19, v19, v30
	;; [unrolled: 1-line block ×4, first 2 shown]
	v_fmamk_f16 v22, v16, 0xbaee, v4
	v_fmamk_f16 v9, v15, 0x3aee, v26
	v_fmac_f16_e32 v4, 0x3aee, v16
	v_fmac_f16_e32 v26, 0xbaee, v15
	v_pack_b32_f16 v10, v12, v10
	v_pack_b32_f16 v6, v19, v6
	;; [unrolled: 1-line block ×9, first 2 shown]
	ds_store_2addr_b32 v32, v10, v6 offset1:102
	ds_store_2addr_b32 v0, v2, v3 offset0:100 offset1:202
	ds_store_2addr_b32 v11, v5, v12 offset0:76 offset1:178
	;; [unrolled: 1-line block ×3, first 2 shown]
	ds_store_b32 v32, v4 offset:3264
	global_wb scope:SCOPE_SE
	s_wait_dscnt 0x0
	s_barrier_signal -1
	s_barrier_wait -1
	global_inv scope:SCOPE_SE
	s_and_b32 exec_lo, exec_lo, vcc_lo
	s_cbranch_execz .LBB0_23
; %bb.22:
	global_load_b32 v2, v32, s[8:9]
	ds_load_b32 v3, v32
	s_mov_b32 s10, 0x672e4abd
	s_mov_b32 s11, 0x3f51d8f5
	v_mad_co_u64_u32 v[9:10], null, s4, v33, 0
	s_wait_dscnt 0x0
	v_lshrrev_b32_e32 v4, 16, v3
	s_wait_loadcnt 0x0
	v_lshrrev_b32_e32 v5, 16, v2
	s_delay_alu instid0(VALU_DEP_1) | instskip(SKIP_1) | instid1(VALU_DEP_2)
	v_mul_f16_e32 v6, v4, v5
	v_mul_f16_e32 v5, v3, v5
	v_fmac_f16_e32 v6, v3, v2
	s_delay_alu instid0(VALU_DEP_2) | instskip(NEXT) | instid1(VALU_DEP_2)
	v_fma_f16 v2, v2, v4, -v5
	v_cvt_f32_f16_e32 v3, v6
	s_delay_alu instid0(VALU_DEP_2) | instskip(SKIP_1) | instid1(VALU_DEP_3)
	v_cvt_f32_f16_e32 v4, v2
	v_mad_co_u64_u32 v[6:7], null, s6, v8, 0
	v_cvt_f64_f32_e32 v[2:3], v3
	s_delay_alu instid0(VALU_DEP_3) | instskip(NEXT) | instid1(VALU_DEP_3)
	v_cvt_f64_f32_e32 v[4:5], v4
	v_mad_co_u64_u32 v[7:8], null, s7, v8, v[7:8]
	s_delay_alu instid0(VALU_DEP_1) | instskip(SKIP_1) | instid1(VALU_DEP_4)
	v_lshlrev_b64_e32 v[6:7], 2, v[6:7]
	s_wait_alu 0xfffe
	v_mul_f64_e32 v[2:3], s[10:11], v[2:3]
	s_delay_alu instid0(VALU_DEP_4) | instskip(NEXT) | instid1(VALU_DEP_2)
	v_mul_f64_e32 v[4:5], s[10:11], v[4:5]
	v_and_or_b32 v2, 0x1ff, v3, v2
	s_delay_alu instid0(VALU_DEP_2)
	v_and_or_b32 v4, 0x1ff, v5, v4
	v_bfe_u32 v14, v5, 20, 11
	v_lshrrev_b32_e32 v11, 8, v3
	v_bfe_u32 v12, v3, 20, 11
	v_cmp_ne_u32_e32 vcc_lo, 0, v2
	v_lshrrev_b32_e32 v13, 8, v5
	v_sub_nc_u32_e32 v16, 0x3f1, v14
	v_add_nc_u32_e32 v14, 0xfffffc10, v14
	v_lshrrev_b32_e32 v5, 16, v5
	v_cndmask_b32_e64 v15, 0, 1, vcc_lo
	v_cmp_ne_u32_e32 vcc_lo, 0, v4
	s_delay_alu instid0(VALU_DEP_2) | instskip(SKIP_2) | instid1(VALU_DEP_1)
	v_and_or_b32 v15, 0xffe, v11, v15
	s_wait_alu 0xfffd
	v_cndmask_b32_e64 v4, 0, 1, vcc_lo
	v_and_or_b32 v4, 0xffe, v13, v4
	v_med3_i32 v13, v16, 0, 13
	v_mov_b32_e32 v2, v10
	v_sub_nc_u32_e32 v10, 0x3f1, v12
	v_or_b32_e32 v16, 0x1000, v15
	v_or_b32_e32 v17, 0x1000, v4
	s_delay_alu instid0(VALU_DEP_3) | instskip(SKIP_1) | instid1(VALU_DEP_3)
	v_med3_i32 v8, v10, 0, 13
	v_mad_co_u64_u32 v[10:11], null, s5, v33, v[2:3]
	v_lshrrev_b32_e32 v11, v13, v17
	s_mul_u64 s[4:5], s[4:5], 0xd8
	s_delay_alu instid0(VALU_DEP_3) | instskip(NEXT) | instid1(VALU_DEP_2)
	v_lshrrev_b32_e32 v2, v8, v16
	v_lshlrev_b32_e32 v13, v13, v11
	s_delay_alu instid0(VALU_DEP_2) | instskip(NEXT) | instid1(VALU_DEP_1)
	v_lshlrev_b32_e32 v8, v8, v2
	v_cmp_ne_u32_e32 vcc_lo, v8, v16
	s_wait_alu 0xfffd
	v_cndmask_b32_e64 v8, 0, 1, vcc_lo
	v_cmp_ne_u32_e32 vcc_lo, v13, v17
	s_delay_alu instid0(VALU_DEP_2) | instskip(SKIP_3) | instid1(VALU_DEP_2)
	v_or_b32_e32 v2, v2, v8
	s_wait_alu 0xfffd
	v_cndmask_b32_e64 v13, 0, 1, vcc_lo
	v_lshl_or_b32 v8, v14, 12, v4
	v_or_b32_e32 v11, v11, v13
	v_add_nc_u32_e32 v12, 0xfffffc10, v12
	v_lshrrev_b32_e32 v13, 16, v3
	s_delay_alu instid0(VALU_DEP_2) | instskip(SKIP_2) | instid1(VALU_DEP_2)
	v_lshl_or_b32 v16, v12, 12, v15
	v_cmp_gt_i32_e32 vcc_lo, 1, v12
	s_wait_alu 0xfffd
	v_cndmask_b32_e32 v2, v16, v2, vcc_lo
	v_cmp_gt_i32_e32 vcc_lo, 1, v14
	s_wait_alu 0xfffd
	v_cndmask_b32_e32 v3, v8, v11, vcc_lo
	v_cmp_ne_u32_e32 vcc_lo, 0, v15
	s_delay_alu instid0(VALU_DEP_2)
	v_and_b32_e32 v15, 7, v3
	s_wait_alu 0xfffd
	v_cndmask_b32_e64 v8, 0, 1, vcc_lo
	v_cmp_ne_u32_e32 vcc_lo, 0, v4
	v_lshrrev_b32_e32 v3, 2, v3
	v_cmp_lt_i32_e64 s1, 5, v15
	s_delay_alu instid0(VALU_DEP_4)
	v_lshl_or_b32 v8, v8, 9, 0x7c00
	v_and_b32_e32 v11, 7, v2
	s_wait_alu 0xfffd
	v_cndmask_b32_e64 v4, 0, 1, vcc_lo
	v_lshrrev_b32_e32 v2, 2, v2
	v_cmp_eq_u32_e64 s2, 3, v15
	v_cmp_lt_i32_e32 vcc_lo, 5, v11
	v_cmp_eq_u32_e64 s0, 3, v11
	v_lshl_or_b32 v4, v4, 9, 0x7c00
	s_delay_alu instid0(VALU_DEP_2)
	s_or_b32 vcc_lo, s0, vcc_lo
	s_wait_alu 0xfffe
	v_add_co_ci_u32_e32 v2, vcc_lo, 0, v2, vcc_lo
	s_or_b32 vcc_lo, s2, s1
	s_wait_alu 0xfffe
	v_add_co_ci_u32_e32 v3, vcc_lo, 0, v3, vcc_lo
	v_cmp_gt_i32_e32 vcc_lo, 31, v12
	s_wait_alu 0xfffd
	v_cndmask_b32_e32 v2, 0x7c00, v2, vcc_lo
	v_cmp_gt_i32_e32 vcc_lo, 31, v14
	s_wait_alu 0xfffd
	v_cndmask_b32_e32 v11, 0x7c00, v3, vcc_lo
	v_cmp_eq_u32_e32 vcc_lo, 0x40f, v12
	s_wait_alu 0xfffd
	v_cndmask_b32_e32 v8, v2, v8, vcc_lo
	v_cmp_eq_u32_e32 vcc_lo, 0x40f, v14
	v_lshlrev_b64_e32 v[2:3], 2, v[9:10]
	s_delay_alu instid0(VALU_DEP_3)
	v_and_or_b32 v8, 0x8000, v13, v8
	s_wait_alu 0xfffd
	v_cndmask_b32_e32 v4, v11, v4, vcc_lo
	v_add_co_u32 v6, vcc_lo, s12, v6
	s_wait_alu 0xfffd
	v_add_co_ci_u32_e32 v7, vcc_lo, s13, v7, vcc_lo
	s_delay_alu instid0(VALU_DEP_3) | instskip(SKIP_4) | instid1(VALU_DEP_3)
	v_and_or_b32 v4, 0x8000, v5, v4
	v_and_b32_e32 v5, 0xffff, v8
	v_add_co_u32 v2, vcc_lo, v6, v2
	s_wait_alu 0xfffd
	v_add_co_ci_u32_e32 v3, vcc_lo, v7, v3, vcc_lo
	v_lshl_or_b32 v4, v4, 16, v5
	global_store_b32 v[2:3], v4, off
	global_load_b32 v6, v32, s[8:9] offset:216
	ds_load_2addr_b32 v[4:5], v32 offset0:54 offset1:108
	s_wait_dscnt 0x0
	v_lshrrev_b32_e32 v7, 16, v4
	s_wait_loadcnt 0x0
	v_lshrrev_b32_e32 v8, 16, v6
	s_delay_alu instid0(VALU_DEP_1) | instskip(SKIP_1) | instid1(VALU_DEP_2)
	v_mul_f16_e32 v9, v7, v8
	v_mul_f16_e32 v8, v4, v8
	v_fmac_f16_e32 v9, v4, v6
	s_delay_alu instid0(VALU_DEP_2) | instskip(NEXT) | instid1(VALU_DEP_2)
	v_fma_f16 v4, v6, v7, -v8
	v_cvt_f32_f16_e32 v6, v9
	s_delay_alu instid0(VALU_DEP_2) | instskip(NEXT) | instid1(VALU_DEP_2)
	v_cvt_f32_f16_e32 v4, v4
	v_cvt_f64_f32_e32 v[6:7], v6
	s_delay_alu instid0(VALU_DEP_2) | instskip(NEXT) | instid1(VALU_DEP_2)
	v_cvt_f64_f32_e32 v[8:9], v4
	v_mul_f64_e32 v[6:7], s[10:11], v[6:7]
	s_delay_alu instid0(VALU_DEP_2) | instskip(NEXT) | instid1(VALU_DEP_2)
	v_mul_f64_e32 v[8:9], s[10:11], v[8:9]
	v_and_or_b32 v4, 0x1ff, v7, v6
	s_delay_alu instid0(VALU_DEP_2)
	v_and_or_b32 v8, 0x1ff, v9, v8
	v_lshrrev_b32_e32 v6, 8, v7
	v_bfe_u32 v10, v7, 20, 11
	v_lshrrev_b32_e32 v11, 8, v9
	v_cmp_ne_u32_e32 vcc_lo, 0, v4
	v_bfe_u32 v12, v9, 20, 11
	v_lshrrev_b32_e32 v7, 16, v7
	v_sub_nc_u32_e32 v13, 0x3f1, v10
	v_add_nc_u32_e32 v10, 0xfffffc10, v10
	s_wait_alu 0xfffd
	v_cndmask_b32_e64 v4, 0, 1, vcc_lo
	v_cmp_ne_u32_e32 vcc_lo, 0, v8
	v_lshrrev_b32_e32 v9, 16, v9
	s_delay_alu instid0(VALU_DEP_3) | instskip(SKIP_4) | instid1(VALU_DEP_3)
	v_and_or_b32 v4, 0xffe, v6, v4
	s_wait_alu 0xfffd
	v_cndmask_b32_e64 v8, 0, 1, vcc_lo
	v_sub_nc_u32_e32 v6, 0x3f1, v12
	v_add_nc_u32_e32 v12, 0xfffffc10, v12
	v_and_or_b32 v8, 0xffe, v11, v8
	v_med3_i32 v11, v13, 0, 13
	v_or_b32_e32 v13, 0x1000, v4
	v_med3_i32 v6, v6, 0, 13
	s_delay_alu instid0(VALU_DEP_4) | instskip(NEXT) | instid1(VALU_DEP_3)
	v_or_b32_e32 v14, 0x1000, v8
	v_lshrrev_b32_e32 v15, v11, v13
	s_delay_alu instid0(VALU_DEP_2) | instskip(NEXT) | instid1(VALU_DEP_2)
	v_lshrrev_b32_e32 v16, v6, v14
	v_lshlrev_b32_e32 v11, v11, v15
	s_delay_alu instid0(VALU_DEP_2) | instskip(NEXT) | instid1(VALU_DEP_2)
	v_lshlrev_b32_e32 v6, v6, v16
	v_cmp_ne_u32_e32 vcc_lo, v11, v13
	v_lshl_or_b32 v13, v10, 12, v4
	s_wait_alu 0xfffd
	v_cndmask_b32_e64 v11, 0, 1, vcc_lo
	v_cmp_ne_u32_e32 vcc_lo, v6, v14
	v_lshl_or_b32 v14, v12, 12, v8
	s_delay_alu instid0(VALU_DEP_3) | instskip(SKIP_3) | instid1(VALU_DEP_2)
	v_or_b32_e32 v11, v15, v11
	s_wait_alu 0xfffd
	v_cndmask_b32_e64 v6, 0, 1, vcc_lo
	v_cmp_gt_i32_e32 vcc_lo, 1, v10
	v_or_b32_e32 v6, v16, v6
	s_wait_alu 0xfffd
	v_cndmask_b32_e32 v11, v13, v11, vcc_lo
	v_cmp_gt_i32_e32 vcc_lo, 1, v12
	s_wait_alu 0xfffd
	s_delay_alu instid0(VALU_DEP_2) | instskip(SKIP_2) | instid1(VALU_DEP_3)
	v_dual_cndmask_b32 v6, v14, v6 :: v_dual_and_b32 v13, 7, v11
	v_cmp_ne_u32_e32 vcc_lo, 0, v4
	v_lshrrev_b32_e32 v11, 2, v11
	v_cmp_eq_u32_e64 s0, 3, v13
	s_delay_alu instid0(VALU_DEP_4)
	v_and_b32_e32 v14, 7, v6
	s_wait_alu 0xfffd
	v_cndmask_b32_e64 v4, 0, 1, vcc_lo
	v_cmp_ne_u32_e32 vcc_lo, 0, v8
	v_lshrrev_b32_e32 v6, 2, v6
	v_cmp_lt_i32_e64 s1, 5, v14
	v_cmp_eq_u32_e64 s2, 3, v14
	s_wait_alu 0xfffd
	v_cndmask_b32_e64 v8, 0, 1, vcc_lo
	v_cmp_lt_i32_e32 vcc_lo, 5, v13
	v_lshl_or_b32 v4, v4, 9, 0x7c00
	s_delay_alu instid0(VALU_DEP_3)
	v_lshl_or_b32 v8, v8, 9, 0x7c00
	s_or_b32 vcc_lo, s0, vcc_lo
	s_wait_alu 0xfffe
	v_add_co_ci_u32_e32 v11, vcc_lo, 0, v11, vcc_lo
	s_or_b32 vcc_lo, s2, s1
	s_wait_alu 0xfffe
	v_add_co_ci_u32_e32 v6, vcc_lo, 0, v6, vcc_lo
	v_cmp_gt_i32_e32 vcc_lo, 31, v10
	s_wait_alu 0xfffd
	v_cndmask_b32_e32 v11, 0x7c00, v11, vcc_lo
	v_cmp_gt_i32_e32 vcc_lo, 31, v12
	s_wait_alu 0xfffd
	v_cndmask_b32_e32 v6, 0x7c00, v6, vcc_lo
	v_cmp_eq_u32_e32 vcc_lo, 0x40f, v10
	s_wait_alu 0xfffd
	v_cndmask_b32_e32 v4, v11, v4, vcc_lo
	v_cmp_eq_u32_e32 vcc_lo, 0x40f, v12
	s_delay_alu instid0(VALU_DEP_2)
	v_and_or_b32 v4, 0x8000, v7, v4
	s_wait_alu 0xfffd
	v_cndmask_b32_e32 v6, v6, v8, vcc_lo
	v_add_co_u32 v2, vcc_lo, v2, s4
	s_wait_alu 0xfffd
	v_add_co_ci_u32_e32 v3, vcc_lo, s5, v3, vcc_lo
	s_delay_alu instid0(VALU_DEP_3) | instskip(SKIP_1) | instid1(VALU_DEP_1)
	v_and_or_b32 v6, 0x8000, v9, v6
	v_and_b32_e32 v4, 0xffff, v4
	v_lshl_or_b32 v4, v6, 16, v4
	v_lshrrev_b32_e32 v6, 16, v5
	global_store_b32 v[2:3], v4, off
	global_load_b32 v4, v32, s[8:9] offset:432
	s_wait_loadcnt 0x0
	v_lshrrev_b32_e32 v7, 16, v4
	s_delay_alu instid0(VALU_DEP_1) | instskip(SKIP_1) | instid1(VALU_DEP_2)
	v_mul_f16_e32 v8, v6, v7
	v_mul_f16_e32 v7, v5, v7
	v_fmac_f16_e32 v8, v5, v4
	s_delay_alu instid0(VALU_DEP_2) | instskip(NEXT) | instid1(VALU_DEP_2)
	v_fma_f16 v4, v4, v6, -v7
	v_cvt_f32_f16_e32 v5, v8
	s_delay_alu instid0(VALU_DEP_2) | instskip(NEXT) | instid1(VALU_DEP_2)
	v_cvt_f32_f16_e32 v6, v4
	v_cvt_f64_f32_e32 v[4:5], v5
	s_delay_alu instid0(VALU_DEP_2) | instskip(NEXT) | instid1(VALU_DEP_2)
	v_cvt_f64_f32_e32 v[6:7], v6
	v_mul_f64_e32 v[4:5], s[10:11], v[4:5]
	s_delay_alu instid0(VALU_DEP_2) | instskip(NEXT) | instid1(VALU_DEP_2)
	v_mul_f64_e32 v[6:7], s[10:11], v[6:7]
	v_and_or_b32 v4, 0x1ff, v5, v4
	s_delay_alu instid0(VALU_DEP_2)
	v_and_or_b32 v6, 0x1ff, v7, v6
	v_lshrrev_b32_e32 v8, 8, v5
	v_bfe_u32 v9, v5, 20, 11
	v_lshrrev_b32_e32 v10, 8, v7
	v_cmp_ne_u32_e32 vcc_lo, 0, v4
	v_bfe_u32 v11, v7, 20, 11
	v_lshrrev_b32_e32 v5, 16, v5
	v_sub_nc_u32_e32 v12, 0x3f1, v9
	v_add_nc_u32_e32 v9, 0xfffffc10, v9
	s_wait_alu 0xfffd
	v_cndmask_b32_e64 v4, 0, 1, vcc_lo
	v_cmp_ne_u32_e32 vcc_lo, 0, v6
	v_lshrrev_b32_e32 v7, 16, v7
	s_delay_alu instid0(VALU_DEP_3) | instskip(SKIP_4) | instid1(VALU_DEP_3)
	v_and_or_b32 v4, 0xffe, v8, v4
	s_wait_alu 0xfffd
	v_cndmask_b32_e64 v6, 0, 1, vcc_lo
	v_sub_nc_u32_e32 v8, 0x3f1, v11
	v_add_nc_u32_e32 v11, 0xfffffc10, v11
	v_and_or_b32 v6, 0xffe, v10, v6
	v_med3_i32 v10, v12, 0, 13
	v_or_b32_e32 v12, 0x1000, v4
	v_med3_i32 v8, v8, 0, 13
	s_delay_alu instid0(VALU_DEP_4) | instskip(NEXT) | instid1(VALU_DEP_3)
	v_or_b32_e32 v13, 0x1000, v6
	v_lshrrev_b32_e32 v14, v10, v12
	s_delay_alu instid0(VALU_DEP_2) | instskip(NEXT) | instid1(VALU_DEP_2)
	v_lshrrev_b32_e32 v15, v8, v13
	v_lshlrev_b32_e32 v10, v10, v14
	s_delay_alu instid0(VALU_DEP_2) | instskip(NEXT) | instid1(VALU_DEP_2)
	v_lshlrev_b32_e32 v8, v8, v15
	v_cmp_ne_u32_e32 vcc_lo, v10, v12
	v_lshl_or_b32 v12, v9, 12, v4
	s_wait_alu 0xfffd
	v_cndmask_b32_e64 v10, 0, 1, vcc_lo
	v_cmp_ne_u32_e32 vcc_lo, v8, v13
	v_lshl_or_b32 v13, v11, 12, v6
	s_delay_alu instid0(VALU_DEP_3) | instskip(SKIP_3) | instid1(VALU_DEP_2)
	v_or_b32_e32 v10, v14, v10
	s_wait_alu 0xfffd
	v_cndmask_b32_e64 v8, 0, 1, vcc_lo
	v_cmp_gt_i32_e32 vcc_lo, 1, v9
	v_or_b32_e32 v8, v15, v8
	s_wait_alu 0xfffd
	v_cndmask_b32_e32 v10, v12, v10, vcc_lo
	v_cmp_gt_i32_e32 vcc_lo, 1, v11
	s_delay_alu instid0(VALU_DEP_2)
	v_and_b32_e32 v12, 7, v10
	s_wait_alu 0xfffd
	v_cndmask_b32_e32 v8, v13, v8, vcc_lo
	v_cmp_ne_u32_e32 vcc_lo, 0, v4
	v_lshrrev_b32_e32 v10, 2, v10
	v_cmp_eq_u32_e64 s0, 3, v12
	s_delay_alu instid0(VALU_DEP_4)
	v_and_b32_e32 v13, 7, v8
	s_wait_alu 0xfffd
	v_cndmask_b32_e64 v4, 0, 1, vcc_lo
	v_cmp_ne_u32_e32 vcc_lo, 0, v6
	v_lshrrev_b32_e32 v8, 2, v8
	v_cmp_lt_i32_e64 s1, 5, v13
	v_cmp_eq_u32_e64 s2, 3, v13
	s_wait_alu 0xfffd
	v_cndmask_b32_e64 v6, 0, 1, vcc_lo
	v_cmp_lt_i32_e32 vcc_lo, 5, v12
	v_lshl_or_b32 v4, v4, 9, 0x7c00
	s_delay_alu instid0(VALU_DEP_3)
	v_lshl_or_b32 v6, v6, 9, 0x7c00
	s_or_b32 vcc_lo, s0, vcc_lo
	s_wait_alu 0xfffe
	v_add_co_ci_u32_e32 v10, vcc_lo, 0, v10, vcc_lo
	s_or_b32 vcc_lo, s2, s1
	s_wait_alu 0xfffe
	v_add_co_ci_u32_e32 v8, vcc_lo, 0, v8, vcc_lo
	v_cmp_gt_i32_e32 vcc_lo, 31, v9
	s_wait_alu 0xfffd
	v_cndmask_b32_e32 v10, 0x7c00, v10, vcc_lo
	v_cmp_gt_i32_e32 vcc_lo, 31, v11
	s_wait_alu 0xfffd
	v_cndmask_b32_e32 v8, 0x7c00, v8, vcc_lo
	v_cmp_eq_u32_e32 vcc_lo, 0x40f, v9
	s_wait_alu 0xfffd
	v_cndmask_b32_e32 v4, v10, v4, vcc_lo
	v_cmp_eq_u32_e32 vcc_lo, 0x40f, v11
	s_delay_alu instid0(VALU_DEP_2)
	v_and_or_b32 v4, 0x8000, v5, v4
	s_wait_alu 0xfffd
	v_cndmask_b32_e32 v6, v8, v6, vcc_lo
	v_add_co_u32 v2, vcc_lo, v2, s4
	s_wait_alu 0xfffd
	v_add_co_ci_u32_e32 v3, vcc_lo, s5, v3, vcc_lo
	s_delay_alu instid0(VALU_DEP_3) | instskip(SKIP_1) | instid1(VALU_DEP_1)
	v_and_or_b32 v5, 0x8000, v7, v6
	v_and_b32_e32 v4, 0xffff, v4
	v_lshl_or_b32 v4, v5, 16, v4
	global_store_b32 v[2:3], v4, off
	global_load_b32 v6, v32, s[8:9] offset:648
	ds_load_2addr_b32 v[4:5], v32 offset0:162 offset1:216
	s_wait_dscnt 0x0
	v_lshrrev_b32_e32 v7, 16, v4
	s_wait_loadcnt 0x0
	v_lshrrev_b32_e32 v8, 16, v6
	s_delay_alu instid0(VALU_DEP_1) | instskip(SKIP_1) | instid1(VALU_DEP_2)
	v_mul_f16_e32 v9, v7, v8
	v_mul_f16_e32 v8, v4, v8
	v_fmac_f16_e32 v9, v4, v6
	s_delay_alu instid0(VALU_DEP_2) | instskip(NEXT) | instid1(VALU_DEP_2)
	v_fma_f16 v4, v6, v7, -v8
	v_cvt_f32_f16_e32 v6, v9
	s_delay_alu instid0(VALU_DEP_2) | instskip(NEXT) | instid1(VALU_DEP_2)
	v_cvt_f32_f16_e32 v4, v4
	v_cvt_f64_f32_e32 v[6:7], v6
	s_delay_alu instid0(VALU_DEP_2) | instskip(NEXT) | instid1(VALU_DEP_2)
	v_cvt_f64_f32_e32 v[8:9], v4
	v_mul_f64_e32 v[6:7], s[10:11], v[6:7]
	s_delay_alu instid0(VALU_DEP_2) | instskip(NEXT) | instid1(VALU_DEP_2)
	v_mul_f64_e32 v[8:9], s[10:11], v[8:9]
	v_and_or_b32 v4, 0x1ff, v7, v6
	s_delay_alu instid0(VALU_DEP_2)
	v_and_or_b32 v8, 0x1ff, v9, v8
	v_lshrrev_b32_e32 v6, 8, v7
	v_bfe_u32 v10, v7, 20, 11
	v_lshrrev_b32_e32 v11, 8, v9
	v_cmp_ne_u32_e32 vcc_lo, 0, v4
	v_bfe_u32 v12, v9, 20, 11
	v_lshrrev_b32_e32 v7, 16, v7
	v_sub_nc_u32_e32 v13, 0x3f1, v10
	v_add_nc_u32_e32 v10, 0xfffffc10, v10
	s_wait_alu 0xfffd
	v_cndmask_b32_e64 v4, 0, 1, vcc_lo
	v_cmp_ne_u32_e32 vcc_lo, 0, v8
	v_lshrrev_b32_e32 v9, 16, v9
	s_delay_alu instid0(VALU_DEP_3) | instskip(SKIP_4) | instid1(VALU_DEP_3)
	v_and_or_b32 v4, 0xffe, v6, v4
	s_wait_alu 0xfffd
	v_cndmask_b32_e64 v8, 0, 1, vcc_lo
	v_sub_nc_u32_e32 v6, 0x3f1, v12
	v_add_nc_u32_e32 v12, 0xfffffc10, v12
	v_and_or_b32 v8, 0xffe, v11, v8
	v_med3_i32 v11, v13, 0, 13
	v_or_b32_e32 v13, 0x1000, v4
	v_med3_i32 v6, v6, 0, 13
	s_delay_alu instid0(VALU_DEP_4) | instskip(NEXT) | instid1(VALU_DEP_3)
	v_or_b32_e32 v14, 0x1000, v8
	v_lshrrev_b32_e32 v15, v11, v13
	s_delay_alu instid0(VALU_DEP_2) | instskip(NEXT) | instid1(VALU_DEP_2)
	v_lshrrev_b32_e32 v16, v6, v14
	v_lshlrev_b32_e32 v11, v11, v15
	s_delay_alu instid0(VALU_DEP_2) | instskip(NEXT) | instid1(VALU_DEP_2)
	v_lshlrev_b32_e32 v6, v6, v16
	v_cmp_ne_u32_e32 vcc_lo, v11, v13
	v_lshl_or_b32 v13, v10, 12, v4
	s_wait_alu 0xfffd
	v_cndmask_b32_e64 v11, 0, 1, vcc_lo
	v_cmp_ne_u32_e32 vcc_lo, v6, v14
	v_lshl_or_b32 v14, v12, 12, v8
	s_delay_alu instid0(VALU_DEP_3) | instskip(SKIP_3) | instid1(VALU_DEP_2)
	v_or_b32_e32 v11, v15, v11
	s_wait_alu 0xfffd
	v_cndmask_b32_e64 v6, 0, 1, vcc_lo
	v_cmp_gt_i32_e32 vcc_lo, 1, v10
	v_or_b32_e32 v6, v16, v6
	s_wait_alu 0xfffd
	v_cndmask_b32_e32 v11, v13, v11, vcc_lo
	v_cmp_gt_i32_e32 vcc_lo, 1, v12
	s_wait_alu 0xfffd
	s_delay_alu instid0(VALU_DEP_2) | instskip(SKIP_2) | instid1(VALU_DEP_3)
	v_dual_cndmask_b32 v6, v14, v6 :: v_dual_and_b32 v13, 7, v11
	v_cmp_ne_u32_e32 vcc_lo, 0, v4
	v_lshrrev_b32_e32 v11, 2, v11
	v_cmp_eq_u32_e64 s0, 3, v13
	s_delay_alu instid0(VALU_DEP_4)
	v_and_b32_e32 v14, 7, v6
	s_wait_alu 0xfffd
	v_cndmask_b32_e64 v4, 0, 1, vcc_lo
	v_cmp_ne_u32_e32 vcc_lo, 0, v8
	v_lshrrev_b32_e32 v6, 2, v6
	v_cmp_lt_i32_e64 s1, 5, v14
	v_cmp_eq_u32_e64 s2, 3, v14
	s_wait_alu 0xfffd
	v_cndmask_b32_e64 v8, 0, 1, vcc_lo
	v_cmp_lt_i32_e32 vcc_lo, 5, v13
	v_lshl_or_b32 v4, v4, 9, 0x7c00
	s_delay_alu instid0(VALU_DEP_3)
	v_lshl_or_b32 v8, v8, 9, 0x7c00
	s_or_b32 vcc_lo, s0, vcc_lo
	s_wait_alu 0xfffe
	v_add_co_ci_u32_e32 v11, vcc_lo, 0, v11, vcc_lo
	s_or_b32 vcc_lo, s2, s1
	s_wait_alu 0xfffe
	v_add_co_ci_u32_e32 v6, vcc_lo, 0, v6, vcc_lo
	v_cmp_gt_i32_e32 vcc_lo, 31, v10
	s_wait_alu 0xfffd
	v_cndmask_b32_e32 v11, 0x7c00, v11, vcc_lo
	v_cmp_gt_i32_e32 vcc_lo, 31, v12
	s_wait_alu 0xfffd
	v_cndmask_b32_e32 v6, 0x7c00, v6, vcc_lo
	v_cmp_eq_u32_e32 vcc_lo, 0x40f, v10
	s_wait_alu 0xfffd
	v_cndmask_b32_e32 v4, v11, v4, vcc_lo
	v_cmp_eq_u32_e32 vcc_lo, 0x40f, v12
	s_delay_alu instid0(VALU_DEP_2)
	v_and_or_b32 v4, 0x8000, v7, v4
	s_wait_alu 0xfffd
	v_cndmask_b32_e32 v6, v6, v8, vcc_lo
	v_add_co_u32 v2, vcc_lo, v2, s4
	s_wait_alu 0xfffd
	v_add_co_ci_u32_e32 v3, vcc_lo, s5, v3, vcc_lo
	s_delay_alu instid0(VALU_DEP_3) | instskip(SKIP_1) | instid1(VALU_DEP_1)
	v_and_or_b32 v6, 0x8000, v9, v6
	v_and_b32_e32 v4, 0xffff, v4
	v_lshl_or_b32 v4, v6, 16, v4
	v_lshrrev_b32_e32 v6, 16, v5
	global_store_b32 v[2:3], v4, off
	global_load_b32 v4, v32, s[8:9] offset:864
	s_wait_loadcnt 0x0
	v_lshrrev_b32_e32 v7, 16, v4
	s_delay_alu instid0(VALU_DEP_1) | instskip(SKIP_1) | instid1(VALU_DEP_2)
	v_mul_f16_e32 v8, v6, v7
	v_mul_f16_e32 v7, v5, v7
	v_fmac_f16_e32 v8, v5, v4
	s_delay_alu instid0(VALU_DEP_2) | instskip(NEXT) | instid1(VALU_DEP_2)
	v_fma_f16 v4, v4, v6, -v7
	v_cvt_f32_f16_e32 v5, v8
	s_delay_alu instid0(VALU_DEP_2) | instskip(NEXT) | instid1(VALU_DEP_2)
	v_cvt_f32_f16_e32 v6, v4
	v_cvt_f64_f32_e32 v[4:5], v5
	s_delay_alu instid0(VALU_DEP_2) | instskip(NEXT) | instid1(VALU_DEP_2)
	v_cvt_f64_f32_e32 v[6:7], v6
	v_mul_f64_e32 v[4:5], s[10:11], v[4:5]
	s_delay_alu instid0(VALU_DEP_2) | instskip(NEXT) | instid1(VALU_DEP_2)
	v_mul_f64_e32 v[6:7], s[10:11], v[6:7]
	v_and_or_b32 v4, 0x1ff, v5, v4
	s_delay_alu instid0(VALU_DEP_2)
	v_and_or_b32 v6, 0x1ff, v7, v6
	v_lshrrev_b32_e32 v8, 8, v5
	v_bfe_u32 v9, v5, 20, 11
	v_lshrrev_b32_e32 v10, 8, v7
	v_cmp_ne_u32_e32 vcc_lo, 0, v4
	v_bfe_u32 v11, v7, 20, 11
	v_lshrrev_b32_e32 v5, 16, v5
	v_sub_nc_u32_e32 v12, 0x3f1, v9
	v_add_nc_u32_e32 v9, 0xfffffc10, v9
	s_wait_alu 0xfffd
	v_cndmask_b32_e64 v4, 0, 1, vcc_lo
	v_cmp_ne_u32_e32 vcc_lo, 0, v6
	v_lshrrev_b32_e32 v7, 16, v7
	s_delay_alu instid0(VALU_DEP_3) | instskip(SKIP_4) | instid1(VALU_DEP_3)
	v_and_or_b32 v4, 0xffe, v8, v4
	s_wait_alu 0xfffd
	v_cndmask_b32_e64 v6, 0, 1, vcc_lo
	v_sub_nc_u32_e32 v8, 0x3f1, v11
	v_add_nc_u32_e32 v11, 0xfffffc10, v11
	v_and_or_b32 v6, 0xffe, v10, v6
	v_med3_i32 v10, v12, 0, 13
	v_or_b32_e32 v12, 0x1000, v4
	v_med3_i32 v8, v8, 0, 13
	s_delay_alu instid0(VALU_DEP_4) | instskip(NEXT) | instid1(VALU_DEP_3)
	v_or_b32_e32 v13, 0x1000, v6
	v_lshrrev_b32_e32 v14, v10, v12
	s_delay_alu instid0(VALU_DEP_2) | instskip(NEXT) | instid1(VALU_DEP_2)
	v_lshrrev_b32_e32 v15, v8, v13
	v_lshlrev_b32_e32 v10, v10, v14
	s_delay_alu instid0(VALU_DEP_2) | instskip(NEXT) | instid1(VALU_DEP_2)
	v_lshlrev_b32_e32 v8, v8, v15
	v_cmp_ne_u32_e32 vcc_lo, v10, v12
	v_lshl_or_b32 v12, v9, 12, v4
	s_wait_alu 0xfffd
	v_cndmask_b32_e64 v10, 0, 1, vcc_lo
	v_cmp_ne_u32_e32 vcc_lo, v8, v13
	v_lshl_or_b32 v13, v11, 12, v6
	s_delay_alu instid0(VALU_DEP_3) | instskip(SKIP_3) | instid1(VALU_DEP_2)
	v_or_b32_e32 v10, v14, v10
	s_wait_alu 0xfffd
	v_cndmask_b32_e64 v8, 0, 1, vcc_lo
	v_cmp_gt_i32_e32 vcc_lo, 1, v9
	v_or_b32_e32 v8, v15, v8
	s_wait_alu 0xfffd
	v_cndmask_b32_e32 v10, v12, v10, vcc_lo
	v_cmp_gt_i32_e32 vcc_lo, 1, v11
	s_delay_alu instid0(VALU_DEP_2)
	v_and_b32_e32 v12, 7, v10
	s_wait_alu 0xfffd
	v_cndmask_b32_e32 v8, v13, v8, vcc_lo
	v_cmp_ne_u32_e32 vcc_lo, 0, v4
	v_lshrrev_b32_e32 v10, 2, v10
	v_cmp_eq_u32_e64 s0, 3, v12
	s_delay_alu instid0(VALU_DEP_4)
	v_and_b32_e32 v13, 7, v8
	s_wait_alu 0xfffd
	v_cndmask_b32_e64 v4, 0, 1, vcc_lo
	v_cmp_ne_u32_e32 vcc_lo, 0, v6
	v_lshrrev_b32_e32 v8, 2, v8
	v_cmp_lt_i32_e64 s1, 5, v13
	v_cmp_eq_u32_e64 s2, 3, v13
	s_wait_alu 0xfffd
	v_cndmask_b32_e64 v6, 0, 1, vcc_lo
	v_cmp_lt_i32_e32 vcc_lo, 5, v12
	v_lshl_or_b32 v4, v4, 9, 0x7c00
	s_delay_alu instid0(VALU_DEP_3)
	v_lshl_or_b32 v6, v6, 9, 0x7c00
	s_or_b32 vcc_lo, s0, vcc_lo
	s_wait_alu 0xfffe
	v_add_co_ci_u32_e32 v10, vcc_lo, 0, v10, vcc_lo
	s_or_b32 vcc_lo, s2, s1
	s_wait_alu 0xfffe
	v_add_co_ci_u32_e32 v8, vcc_lo, 0, v8, vcc_lo
	v_cmp_gt_i32_e32 vcc_lo, 31, v9
	s_wait_alu 0xfffd
	v_cndmask_b32_e32 v10, 0x7c00, v10, vcc_lo
	v_cmp_gt_i32_e32 vcc_lo, 31, v11
	s_wait_alu 0xfffd
	v_cndmask_b32_e32 v8, 0x7c00, v8, vcc_lo
	v_cmp_eq_u32_e32 vcc_lo, 0x40f, v9
	s_wait_alu 0xfffd
	v_cndmask_b32_e32 v4, v10, v4, vcc_lo
	v_cmp_eq_u32_e32 vcc_lo, 0x40f, v11
	s_delay_alu instid0(VALU_DEP_2)
	v_and_or_b32 v4, 0x8000, v5, v4
	s_wait_alu 0xfffd
	v_cndmask_b32_e32 v6, v8, v6, vcc_lo
	v_add_co_u32 v2, vcc_lo, v2, s4
	s_wait_alu 0xfffd
	v_add_co_ci_u32_e32 v3, vcc_lo, s5, v3, vcc_lo
	s_delay_alu instid0(VALU_DEP_3) | instskip(SKIP_1) | instid1(VALU_DEP_1)
	v_and_or_b32 v5, 0x8000, v7, v6
	v_and_b32_e32 v4, 0xffff, v4
	v_lshl_or_b32 v4, v5, 16, v4
	global_store_b32 v[2:3], v4, off
	global_load_b32 v6, v32, s[8:9] offset:1080
	ds_load_2addr_b32 v[4:5], v1 offset0:14 offset1:68
	s_wait_dscnt 0x0
	v_lshrrev_b32_e32 v7, 16, v4
	s_wait_loadcnt 0x0
	v_lshrrev_b32_e32 v8, 16, v6
	s_delay_alu instid0(VALU_DEP_1) | instskip(SKIP_1) | instid1(VALU_DEP_2)
	v_mul_f16_e32 v9, v7, v8
	v_mul_f16_e32 v8, v4, v8
	v_fmac_f16_e32 v9, v4, v6
	s_delay_alu instid0(VALU_DEP_2) | instskip(NEXT) | instid1(VALU_DEP_2)
	v_fma_f16 v4, v6, v7, -v8
	v_cvt_f32_f16_e32 v6, v9
	s_delay_alu instid0(VALU_DEP_2) | instskip(NEXT) | instid1(VALU_DEP_2)
	v_cvt_f32_f16_e32 v4, v4
	v_cvt_f64_f32_e32 v[6:7], v6
	s_delay_alu instid0(VALU_DEP_2) | instskip(NEXT) | instid1(VALU_DEP_2)
	v_cvt_f64_f32_e32 v[8:9], v4
	v_mul_f64_e32 v[6:7], s[10:11], v[6:7]
	s_delay_alu instid0(VALU_DEP_2) | instskip(NEXT) | instid1(VALU_DEP_2)
	v_mul_f64_e32 v[8:9], s[10:11], v[8:9]
	v_and_or_b32 v4, 0x1ff, v7, v6
	s_delay_alu instid0(VALU_DEP_2)
	v_and_or_b32 v8, 0x1ff, v9, v8
	v_lshrrev_b32_e32 v6, 8, v7
	v_bfe_u32 v10, v7, 20, 11
	v_lshrrev_b32_e32 v11, 8, v9
	v_cmp_ne_u32_e32 vcc_lo, 0, v4
	v_bfe_u32 v12, v9, 20, 11
	v_lshrrev_b32_e32 v7, 16, v7
	v_sub_nc_u32_e32 v13, 0x3f1, v10
	v_add_nc_u32_e32 v10, 0xfffffc10, v10
	s_wait_alu 0xfffd
	v_cndmask_b32_e64 v4, 0, 1, vcc_lo
	v_cmp_ne_u32_e32 vcc_lo, 0, v8
	v_lshrrev_b32_e32 v9, 16, v9
	s_delay_alu instid0(VALU_DEP_3) | instskip(SKIP_4) | instid1(VALU_DEP_3)
	v_and_or_b32 v4, 0xffe, v6, v4
	s_wait_alu 0xfffd
	v_cndmask_b32_e64 v8, 0, 1, vcc_lo
	v_sub_nc_u32_e32 v6, 0x3f1, v12
	v_add_nc_u32_e32 v12, 0xfffffc10, v12
	v_and_or_b32 v8, 0xffe, v11, v8
	v_med3_i32 v11, v13, 0, 13
	v_or_b32_e32 v13, 0x1000, v4
	v_med3_i32 v6, v6, 0, 13
	s_delay_alu instid0(VALU_DEP_4) | instskip(NEXT) | instid1(VALU_DEP_3)
	v_or_b32_e32 v14, 0x1000, v8
	v_lshrrev_b32_e32 v15, v11, v13
	s_delay_alu instid0(VALU_DEP_2) | instskip(NEXT) | instid1(VALU_DEP_2)
	v_lshrrev_b32_e32 v16, v6, v14
	v_lshlrev_b32_e32 v11, v11, v15
	s_delay_alu instid0(VALU_DEP_2) | instskip(NEXT) | instid1(VALU_DEP_2)
	v_lshlrev_b32_e32 v6, v6, v16
	v_cmp_ne_u32_e32 vcc_lo, v11, v13
	v_lshl_or_b32 v13, v10, 12, v4
	s_wait_alu 0xfffd
	v_cndmask_b32_e64 v11, 0, 1, vcc_lo
	v_cmp_ne_u32_e32 vcc_lo, v6, v14
	v_lshl_or_b32 v14, v12, 12, v8
	s_delay_alu instid0(VALU_DEP_3) | instskip(SKIP_3) | instid1(VALU_DEP_2)
	v_or_b32_e32 v11, v15, v11
	s_wait_alu 0xfffd
	v_cndmask_b32_e64 v6, 0, 1, vcc_lo
	v_cmp_gt_i32_e32 vcc_lo, 1, v10
	v_or_b32_e32 v6, v16, v6
	s_wait_alu 0xfffd
	v_cndmask_b32_e32 v11, v13, v11, vcc_lo
	v_cmp_gt_i32_e32 vcc_lo, 1, v12
	s_wait_alu 0xfffd
	s_delay_alu instid0(VALU_DEP_2) | instskip(SKIP_2) | instid1(VALU_DEP_3)
	v_dual_cndmask_b32 v6, v14, v6 :: v_dual_and_b32 v13, 7, v11
	v_cmp_ne_u32_e32 vcc_lo, 0, v4
	v_lshrrev_b32_e32 v11, 2, v11
	v_cmp_eq_u32_e64 s0, 3, v13
	s_delay_alu instid0(VALU_DEP_4)
	v_and_b32_e32 v14, 7, v6
	s_wait_alu 0xfffd
	v_cndmask_b32_e64 v4, 0, 1, vcc_lo
	v_cmp_ne_u32_e32 vcc_lo, 0, v8
	v_lshrrev_b32_e32 v6, 2, v6
	v_cmp_lt_i32_e64 s1, 5, v14
	v_cmp_eq_u32_e64 s2, 3, v14
	s_wait_alu 0xfffd
	v_cndmask_b32_e64 v8, 0, 1, vcc_lo
	v_cmp_lt_i32_e32 vcc_lo, 5, v13
	v_lshl_or_b32 v4, v4, 9, 0x7c00
	s_delay_alu instid0(VALU_DEP_3)
	v_lshl_or_b32 v8, v8, 9, 0x7c00
	s_or_b32 vcc_lo, s0, vcc_lo
	s_wait_alu 0xfffe
	v_add_co_ci_u32_e32 v11, vcc_lo, 0, v11, vcc_lo
	s_or_b32 vcc_lo, s2, s1
	s_wait_alu 0xfffe
	v_add_co_ci_u32_e32 v6, vcc_lo, 0, v6, vcc_lo
	v_cmp_gt_i32_e32 vcc_lo, 31, v10
	s_wait_alu 0xfffd
	v_cndmask_b32_e32 v11, 0x7c00, v11, vcc_lo
	v_cmp_gt_i32_e32 vcc_lo, 31, v12
	s_wait_alu 0xfffd
	v_cndmask_b32_e32 v6, 0x7c00, v6, vcc_lo
	v_cmp_eq_u32_e32 vcc_lo, 0x40f, v10
	s_wait_alu 0xfffd
	v_cndmask_b32_e32 v4, v11, v4, vcc_lo
	v_cmp_eq_u32_e32 vcc_lo, 0x40f, v12
	s_delay_alu instid0(VALU_DEP_2)
	v_and_or_b32 v4, 0x8000, v7, v4
	s_wait_alu 0xfffd
	v_cndmask_b32_e32 v6, v6, v8, vcc_lo
	v_add_co_u32 v2, vcc_lo, v2, s4
	s_wait_alu 0xfffd
	v_add_co_ci_u32_e32 v3, vcc_lo, s5, v3, vcc_lo
	s_delay_alu instid0(VALU_DEP_3) | instskip(SKIP_1) | instid1(VALU_DEP_1)
	v_and_or_b32 v6, 0x8000, v9, v6
	v_and_b32_e32 v4, 0xffff, v4
	v_lshl_or_b32 v4, v6, 16, v4
	v_lshrrev_b32_e32 v6, 16, v5
	global_store_b32 v[2:3], v4, off
	global_load_b32 v4, v32, s[8:9] offset:1296
	s_wait_loadcnt 0x0
	v_lshrrev_b32_e32 v7, 16, v4
	s_delay_alu instid0(VALU_DEP_1) | instskip(SKIP_1) | instid1(VALU_DEP_2)
	v_mul_f16_e32 v8, v6, v7
	v_mul_f16_e32 v7, v5, v7
	v_fmac_f16_e32 v8, v5, v4
	s_delay_alu instid0(VALU_DEP_2) | instskip(NEXT) | instid1(VALU_DEP_2)
	v_fma_f16 v4, v4, v6, -v7
	v_cvt_f32_f16_e32 v5, v8
	s_delay_alu instid0(VALU_DEP_2) | instskip(NEXT) | instid1(VALU_DEP_2)
	v_cvt_f32_f16_e32 v6, v4
	v_cvt_f64_f32_e32 v[4:5], v5
	s_delay_alu instid0(VALU_DEP_2) | instskip(NEXT) | instid1(VALU_DEP_2)
	v_cvt_f64_f32_e32 v[6:7], v6
	v_mul_f64_e32 v[4:5], s[10:11], v[4:5]
	s_delay_alu instid0(VALU_DEP_2) | instskip(NEXT) | instid1(VALU_DEP_2)
	v_mul_f64_e32 v[6:7], s[10:11], v[6:7]
	v_and_or_b32 v4, 0x1ff, v5, v4
	s_delay_alu instid0(VALU_DEP_2)
	v_and_or_b32 v6, 0x1ff, v7, v6
	v_lshrrev_b32_e32 v8, 8, v5
	v_bfe_u32 v9, v5, 20, 11
	v_lshrrev_b32_e32 v10, 8, v7
	v_cmp_ne_u32_e32 vcc_lo, 0, v4
	v_bfe_u32 v11, v7, 20, 11
	v_lshrrev_b32_e32 v5, 16, v5
	v_sub_nc_u32_e32 v12, 0x3f1, v9
	v_add_nc_u32_e32 v9, 0xfffffc10, v9
	s_wait_alu 0xfffd
	v_cndmask_b32_e64 v4, 0, 1, vcc_lo
	v_cmp_ne_u32_e32 vcc_lo, 0, v6
	v_lshrrev_b32_e32 v7, 16, v7
	s_delay_alu instid0(VALU_DEP_3) | instskip(SKIP_4) | instid1(VALU_DEP_3)
	v_and_or_b32 v4, 0xffe, v8, v4
	s_wait_alu 0xfffd
	v_cndmask_b32_e64 v6, 0, 1, vcc_lo
	v_sub_nc_u32_e32 v8, 0x3f1, v11
	v_add_nc_u32_e32 v11, 0xfffffc10, v11
	v_and_or_b32 v6, 0xffe, v10, v6
	v_med3_i32 v10, v12, 0, 13
	v_or_b32_e32 v12, 0x1000, v4
	v_med3_i32 v8, v8, 0, 13
	s_delay_alu instid0(VALU_DEP_4) | instskip(NEXT) | instid1(VALU_DEP_3)
	v_or_b32_e32 v13, 0x1000, v6
	v_lshrrev_b32_e32 v14, v10, v12
	s_delay_alu instid0(VALU_DEP_2) | instskip(NEXT) | instid1(VALU_DEP_2)
	v_lshrrev_b32_e32 v15, v8, v13
	v_lshlrev_b32_e32 v10, v10, v14
	s_delay_alu instid0(VALU_DEP_2) | instskip(NEXT) | instid1(VALU_DEP_2)
	v_lshlrev_b32_e32 v8, v8, v15
	v_cmp_ne_u32_e32 vcc_lo, v10, v12
	v_lshl_or_b32 v12, v9, 12, v4
	s_wait_alu 0xfffd
	v_cndmask_b32_e64 v10, 0, 1, vcc_lo
	v_cmp_ne_u32_e32 vcc_lo, v8, v13
	v_lshl_or_b32 v13, v11, 12, v6
	s_delay_alu instid0(VALU_DEP_3) | instskip(SKIP_3) | instid1(VALU_DEP_2)
	v_or_b32_e32 v10, v14, v10
	s_wait_alu 0xfffd
	v_cndmask_b32_e64 v8, 0, 1, vcc_lo
	v_cmp_gt_i32_e32 vcc_lo, 1, v9
	v_or_b32_e32 v8, v15, v8
	s_wait_alu 0xfffd
	v_cndmask_b32_e32 v10, v12, v10, vcc_lo
	v_cmp_gt_i32_e32 vcc_lo, 1, v11
	s_delay_alu instid0(VALU_DEP_2)
	v_and_b32_e32 v12, 7, v10
	s_wait_alu 0xfffd
	v_cndmask_b32_e32 v8, v13, v8, vcc_lo
	v_cmp_ne_u32_e32 vcc_lo, 0, v4
	v_lshrrev_b32_e32 v10, 2, v10
	v_cmp_eq_u32_e64 s0, 3, v12
	s_delay_alu instid0(VALU_DEP_4)
	v_and_b32_e32 v13, 7, v8
	s_wait_alu 0xfffd
	v_cndmask_b32_e64 v4, 0, 1, vcc_lo
	v_cmp_ne_u32_e32 vcc_lo, 0, v6
	v_lshrrev_b32_e32 v8, 2, v8
	v_cmp_lt_i32_e64 s1, 5, v13
	v_cmp_eq_u32_e64 s2, 3, v13
	s_wait_alu 0xfffd
	v_cndmask_b32_e64 v6, 0, 1, vcc_lo
	v_cmp_lt_i32_e32 vcc_lo, 5, v12
	v_lshl_or_b32 v4, v4, 9, 0x7c00
	s_delay_alu instid0(VALU_DEP_3)
	v_lshl_or_b32 v6, v6, 9, 0x7c00
	s_or_b32 vcc_lo, s0, vcc_lo
	s_wait_alu 0xfffe
	v_add_co_ci_u32_e32 v10, vcc_lo, 0, v10, vcc_lo
	s_or_b32 vcc_lo, s2, s1
	s_wait_alu 0xfffe
	v_add_co_ci_u32_e32 v8, vcc_lo, 0, v8, vcc_lo
	v_cmp_gt_i32_e32 vcc_lo, 31, v9
	s_wait_alu 0xfffd
	v_cndmask_b32_e32 v10, 0x7c00, v10, vcc_lo
	v_cmp_gt_i32_e32 vcc_lo, 31, v11
	s_wait_alu 0xfffd
	v_cndmask_b32_e32 v8, 0x7c00, v8, vcc_lo
	v_cmp_eq_u32_e32 vcc_lo, 0x40f, v9
	s_wait_alu 0xfffd
	v_cndmask_b32_e32 v4, v10, v4, vcc_lo
	v_cmp_eq_u32_e32 vcc_lo, 0x40f, v11
	s_delay_alu instid0(VALU_DEP_2)
	v_and_or_b32 v4, 0x8000, v5, v4
	s_wait_alu 0xfffd
	v_cndmask_b32_e32 v6, v8, v6, vcc_lo
	v_add_co_u32 v2, vcc_lo, v2, s4
	s_wait_alu 0xfffd
	v_add_co_ci_u32_e32 v3, vcc_lo, s5, v3, vcc_lo
	s_delay_alu instid0(VALU_DEP_3) | instskip(SKIP_1) | instid1(VALU_DEP_1)
	v_and_or_b32 v5, 0x8000, v7, v6
	v_and_b32_e32 v4, 0xffff, v4
	v_lshl_or_b32 v4, v5, 16, v4
	global_store_b32 v[2:3], v4, off
	global_load_b32 v6, v32, s[8:9] offset:1512
	ds_load_2addr_b32 v[4:5], v1 offset0:122 offset1:176
	s_wait_dscnt 0x0
	v_lshrrev_b32_e32 v1, 16, v4
	s_wait_loadcnt 0x0
	v_lshrrev_b32_e32 v7, 16, v6
	s_delay_alu instid0(VALU_DEP_1) | instskip(SKIP_1) | instid1(VALU_DEP_2)
	v_mul_f16_e32 v8, v1, v7
	v_mul_f16_e32 v7, v4, v7
	v_fmac_f16_e32 v8, v4, v6
	s_delay_alu instid0(VALU_DEP_2) | instskip(NEXT) | instid1(VALU_DEP_2)
	v_fma_f16 v1, v6, v1, -v7
	v_cvt_f32_f16_e32 v4, v8
	s_delay_alu instid0(VALU_DEP_2) | instskip(NEXT) | instid1(VALU_DEP_2)
	v_cvt_f32_f16_e32 v1, v1
	v_cvt_f64_f32_e32 v[6:7], v4
	s_delay_alu instid0(VALU_DEP_2) | instskip(NEXT) | instid1(VALU_DEP_2)
	v_cvt_f64_f32_e32 v[8:9], v1
	v_mul_f64_e32 v[6:7], s[10:11], v[6:7]
	s_delay_alu instid0(VALU_DEP_2) | instskip(NEXT) | instid1(VALU_DEP_2)
	v_mul_f64_e32 v[8:9], s[10:11], v[8:9]
	v_and_or_b32 v1, 0x1ff, v7, v6
	s_delay_alu instid0(VALU_DEP_2)
	v_and_or_b32 v8, 0x1ff, v9, v8
	v_lshrrev_b32_e32 v4, 8, v7
	v_bfe_u32 v6, v7, 20, 11
	v_lshrrev_b32_e32 v10, 8, v9
	v_cmp_ne_u32_e32 vcc_lo, 0, v1
	v_bfe_u32 v11, v9, 20, 11
	v_lshrrev_b32_e32 v7, 16, v7
	v_sub_nc_u32_e32 v12, 0x3f1, v6
	v_add_nc_u32_e32 v6, 0xfffffc10, v6
	s_wait_alu 0xfffd
	v_cndmask_b32_e64 v1, 0, 1, vcc_lo
	v_cmp_ne_u32_e32 vcc_lo, 0, v8
	s_delay_alu instid0(VALU_DEP_2) | instskip(SKIP_4) | instid1(VALU_DEP_3)
	v_and_or_b32 v1, 0xffe, v4, v1
	s_wait_alu 0xfffd
	v_cndmask_b32_e64 v8, 0, 1, vcc_lo
	v_sub_nc_u32_e32 v4, 0x3f1, v11
	v_add_nc_u32_e32 v11, 0xfffffc10, v11
	v_and_or_b32 v8, 0xffe, v10, v8
	v_med3_i32 v10, v12, 0, 13
	v_or_b32_e32 v12, 0x1000, v1
	v_med3_i32 v4, v4, 0, 13
	s_delay_alu instid0(VALU_DEP_4) | instskip(NEXT) | instid1(VALU_DEP_3)
	v_or_b32_e32 v13, 0x1000, v8
	v_lshrrev_b32_e32 v14, v10, v12
	s_delay_alu instid0(VALU_DEP_2) | instskip(NEXT) | instid1(VALU_DEP_2)
	v_lshrrev_b32_e32 v15, v4, v13
	v_lshlrev_b32_e32 v10, v10, v14
	s_delay_alu instid0(VALU_DEP_2) | instskip(NEXT) | instid1(VALU_DEP_2)
	v_lshlrev_b32_e32 v4, v4, v15
	v_cmp_ne_u32_e32 vcc_lo, v10, v12
	v_lshl_or_b32 v12, v6, 12, v1
	s_wait_alu 0xfffd
	v_cndmask_b32_e64 v10, 0, 1, vcc_lo
	v_cmp_ne_u32_e32 vcc_lo, v4, v13
	v_lshl_or_b32 v13, v11, 12, v8
	s_delay_alu instid0(VALU_DEP_3) | instskip(SKIP_3) | instid1(VALU_DEP_2)
	v_or_b32_e32 v10, v14, v10
	s_wait_alu 0xfffd
	v_cndmask_b32_e64 v4, 0, 1, vcc_lo
	v_cmp_gt_i32_e32 vcc_lo, 1, v6
	v_or_b32_e32 v4, v15, v4
	s_wait_alu 0xfffd
	v_cndmask_b32_e32 v10, v12, v10, vcc_lo
	v_cmp_gt_i32_e32 vcc_lo, 1, v11
	s_delay_alu instid0(VALU_DEP_2)
	v_and_b32_e32 v12, 7, v10
	s_wait_alu 0xfffd
	v_cndmask_b32_e32 v4, v13, v4, vcc_lo
	v_cmp_ne_u32_e32 vcc_lo, 0, v1
	v_lshrrev_b32_e32 v10, 2, v10
	v_cmp_eq_u32_e64 s0, 3, v12
	s_delay_alu instid0(VALU_DEP_4)
	v_and_b32_e32 v13, 7, v4
	s_wait_alu 0xfffd
	v_cndmask_b32_e64 v1, 0, 1, vcc_lo
	v_cmp_ne_u32_e32 vcc_lo, 0, v8
	v_lshrrev_b32_e32 v4, 2, v4
	v_cmp_lt_i32_e64 s1, 5, v13
	v_cmp_eq_u32_e64 s2, 3, v13
	s_wait_alu 0xfffd
	v_cndmask_b32_e64 v8, 0, 1, vcc_lo
	v_cmp_lt_i32_e32 vcc_lo, 5, v12
	v_lshl_or_b32 v1, v1, 9, 0x7c00
	s_delay_alu instid0(VALU_DEP_3)
	v_lshl_or_b32 v8, v8, 9, 0x7c00
	s_or_b32 vcc_lo, s0, vcc_lo
	s_wait_alu 0xfffe
	v_add_co_ci_u32_e32 v10, vcc_lo, 0, v10, vcc_lo
	s_or_b32 vcc_lo, s2, s1
	s_wait_alu 0xfffe
	v_add_co_ci_u32_e32 v4, vcc_lo, 0, v4, vcc_lo
	v_cmp_gt_i32_e32 vcc_lo, 31, v6
	s_wait_alu 0xfffd
	v_cndmask_b32_e32 v10, 0x7c00, v10, vcc_lo
	v_cmp_gt_i32_e32 vcc_lo, 31, v11
	s_wait_alu 0xfffd
	v_cndmask_b32_e32 v4, 0x7c00, v4, vcc_lo
	v_cmp_eq_u32_e32 vcc_lo, 0x40f, v6
	v_lshrrev_b32_e32 v6, 16, v9
	s_wait_alu 0xfffd
	v_cndmask_b32_e32 v1, v10, v1, vcc_lo
	v_cmp_eq_u32_e32 vcc_lo, 0x40f, v11
	s_delay_alu instid0(VALU_DEP_2) | instskip(SKIP_2) | instid1(VALU_DEP_1)
	v_and_or_b32 v1, 0x8000, v7, v1
	s_wait_alu 0xfffd
	v_cndmask_b32_e32 v4, v4, v8, vcc_lo
	v_and_or_b32 v4, 0x8000, v6, v4
	s_delay_alu instid0(VALU_DEP_3) | instskip(SKIP_3) | instid1(VALU_DEP_3)
	v_and_b32_e32 v6, 0xffff, v1
	v_add_co_u32 v1, vcc_lo, v2, s4
	s_wait_alu 0xfffd
	v_add_co_ci_u32_e32 v2, vcc_lo, s5, v3, vcc_lo
	v_lshl_or_b32 v3, v4, 16, v6
	v_lshrrev_b32_e32 v4, 16, v5
	global_store_b32 v[1:2], v3, off
	global_load_b32 v3, v32, s[8:9] offset:1728
	s_wait_loadcnt 0x0
	v_lshrrev_b32_e32 v6, 16, v3
	s_delay_alu instid0(VALU_DEP_1) | instskip(SKIP_1) | instid1(VALU_DEP_2)
	v_mul_f16_e32 v7, v4, v6
	v_mul_f16_e32 v6, v5, v6
	v_fmac_f16_e32 v7, v5, v3
	s_delay_alu instid0(VALU_DEP_2) | instskip(NEXT) | instid1(VALU_DEP_2)
	v_fma_f16 v3, v3, v4, -v6
	v_cvt_f32_f16_e32 v4, v7
	s_delay_alu instid0(VALU_DEP_2) | instskip(NEXT) | instid1(VALU_DEP_2)
	v_cvt_f32_f16_e32 v5, v3
	v_cvt_f64_f32_e32 v[3:4], v4
	s_delay_alu instid0(VALU_DEP_2) | instskip(NEXT) | instid1(VALU_DEP_2)
	v_cvt_f64_f32_e32 v[5:6], v5
	v_mul_f64_e32 v[3:4], s[10:11], v[3:4]
	s_delay_alu instid0(VALU_DEP_2) | instskip(NEXT) | instid1(VALU_DEP_2)
	v_mul_f64_e32 v[5:6], s[10:11], v[5:6]
	v_and_or_b32 v3, 0x1ff, v4, v3
	s_delay_alu instid0(VALU_DEP_2)
	v_and_or_b32 v5, 0x1ff, v6, v5
	v_lshrrev_b32_e32 v7, 8, v4
	v_bfe_u32 v8, v4, 20, 11
	v_lshrrev_b32_e32 v9, 8, v6
	v_cmp_ne_u32_e32 vcc_lo, 0, v3
	v_bfe_u32 v10, v6, 20, 11
	v_lshrrev_b32_e32 v4, 16, v4
	v_sub_nc_u32_e32 v11, 0x3f1, v8
	v_add_nc_u32_e32 v8, 0xfffffc10, v8
	s_wait_alu 0xfffd
	v_cndmask_b32_e64 v3, 0, 1, vcc_lo
	v_cmp_ne_u32_e32 vcc_lo, 0, v5
	v_lshrrev_b32_e32 v6, 16, v6
	s_delay_alu instid0(VALU_DEP_3) | instskip(SKIP_4) | instid1(VALU_DEP_3)
	v_and_or_b32 v3, 0xffe, v7, v3
	s_wait_alu 0xfffd
	v_cndmask_b32_e64 v5, 0, 1, vcc_lo
	v_sub_nc_u32_e32 v7, 0x3f1, v10
	v_add_nc_u32_e32 v10, 0xfffffc10, v10
	v_and_or_b32 v5, 0xffe, v9, v5
	v_med3_i32 v9, v11, 0, 13
	v_or_b32_e32 v11, 0x1000, v3
	v_med3_i32 v7, v7, 0, 13
	s_delay_alu instid0(VALU_DEP_4) | instskip(NEXT) | instid1(VALU_DEP_3)
	v_or_b32_e32 v12, 0x1000, v5
	v_lshrrev_b32_e32 v13, v9, v11
	s_delay_alu instid0(VALU_DEP_2) | instskip(NEXT) | instid1(VALU_DEP_2)
	v_lshrrev_b32_e32 v14, v7, v12
	v_lshlrev_b32_e32 v9, v9, v13
	s_delay_alu instid0(VALU_DEP_2) | instskip(NEXT) | instid1(VALU_DEP_2)
	v_lshlrev_b32_e32 v7, v7, v14
	v_cmp_ne_u32_e32 vcc_lo, v9, v11
	v_lshl_or_b32 v11, v8, 12, v3
	s_wait_alu 0xfffd
	v_cndmask_b32_e64 v9, 0, 1, vcc_lo
	v_cmp_ne_u32_e32 vcc_lo, v7, v12
	v_lshl_or_b32 v12, v10, 12, v5
	s_delay_alu instid0(VALU_DEP_3) | instskip(SKIP_3) | instid1(VALU_DEP_2)
	v_or_b32_e32 v9, v13, v9
	s_wait_alu 0xfffd
	v_cndmask_b32_e64 v7, 0, 1, vcc_lo
	v_cmp_gt_i32_e32 vcc_lo, 1, v8
	v_or_b32_e32 v7, v14, v7
	s_wait_alu 0xfffd
	v_cndmask_b32_e32 v9, v11, v9, vcc_lo
	v_cmp_gt_i32_e32 vcc_lo, 1, v10
	s_delay_alu instid0(VALU_DEP_2)
	v_and_b32_e32 v11, 7, v9
	s_wait_alu 0xfffd
	v_cndmask_b32_e32 v7, v12, v7, vcc_lo
	v_cmp_ne_u32_e32 vcc_lo, 0, v3
	v_lshrrev_b32_e32 v9, 2, v9
	v_cmp_eq_u32_e64 s0, 3, v11
	s_delay_alu instid0(VALU_DEP_4)
	v_and_b32_e32 v12, 7, v7
	s_wait_alu 0xfffd
	v_cndmask_b32_e64 v3, 0, 1, vcc_lo
	v_cmp_ne_u32_e32 vcc_lo, 0, v5
	v_lshrrev_b32_e32 v7, 2, v7
	v_cmp_lt_i32_e64 s1, 5, v12
	v_cmp_eq_u32_e64 s2, 3, v12
	s_wait_alu 0xfffd
	v_cndmask_b32_e64 v5, 0, 1, vcc_lo
	v_cmp_lt_i32_e32 vcc_lo, 5, v11
	v_lshl_or_b32 v3, v3, 9, 0x7c00
	s_delay_alu instid0(VALU_DEP_3)
	v_lshl_or_b32 v5, v5, 9, 0x7c00
	s_or_b32 vcc_lo, s0, vcc_lo
	s_wait_alu 0xfffe
	v_add_co_ci_u32_e32 v9, vcc_lo, 0, v9, vcc_lo
	s_or_b32 vcc_lo, s2, s1
	s_wait_alu 0xfffe
	v_add_co_ci_u32_e32 v7, vcc_lo, 0, v7, vcc_lo
	v_cmp_gt_i32_e32 vcc_lo, 31, v8
	s_wait_alu 0xfffd
	v_cndmask_b32_e32 v9, 0x7c00, v9, vcc_lo
	v_cmp_gt_i32_e32 vcc_lo, 31, v10
	s_wait_alu 0xfffd
	v_cndmask_b32_e32 v7, 0x7c00, v7, vcc_lo
	v_cmp_eq_u32_e32 vcc_lo, 0x40f, v8
	s_wait_alu 0xfffd
	v_cndmask_b32_e32 v3, v9, v3, vcc_lo
	v_cmp_eq_u32_e32 vcc_lo, 0x40f, v10
	s_delay_alu instid0(VALU_DEP_2)
	v_and_or_b32 v3, 0x8000, v4, v3
	s_wait_alu 0xfffd
	v_cndmask_b32_e32 v5, v7, v5, vcc_lo
	v_add_co_u32 v1, vcc_lo, v1, s4
	s_wait_alu 0xfffd
	v_add_co_ci_u32_e32 v2, vcc_lo, s5, v2, vcc_lo
	s_delay_alu instid0(VALU_DEP_3) | instskip(SKIP_1) | instid1(VALU_DEP_1)
	v_and_or_b32 v4, 0x8000, v6, v5
	v_and_b32_e32 v3, 0xffff, v3
	v_lshl_or_b32 v3, v4, 16, v3
	global_store_b32 v[1:2], v3, off
	global_load_b32 v5, v32, s[8:9] offset:1944
	v_add_nc_u32_e32 v3, 0x600, v32
	ds_load_2addr_b32 v[3:4], v3 offset0:102 offset1:156
	s_wait_dscnt 0x0
	v_lshrrev_b32_e32 v6, 16, v3
	s_wait_loadcnt 0x0
	v_lshrrev_b32_e32 v7, 16, v5
	s_delay_alu instid0(VALU_DEP_1) | instskip(SKIP_1) | instid1(VALU_DEP_2)
	v_mul_f16_e32 v8, v6, v7
	v_mul_f16_e32 v7, v3, v7
	v_fmac_f16_e32 v8, v3, v5
	s_delay_alu instid0(VALU_DEP_2) | instskip(NEXT) | instid1(VALU_DEP_2)
	v_fma_f16 v3, v5, v6, -v7
	v_cvt_f32_f16_e32 v5, v8
	s_delay_alu instid0(VALU_DEP_2) | instskip(NEXT) | instid1(VALU_DEP_2)
	v_cvt_f32_f16_e32 v3, v3
	v_cvt_f64_f32_e32 v[5:6], v5
	s_delay_alu instid0(VALU_DEP_2) | instskip(NEXT) | instid1(VALU_DEP_2)
	v_cvt_f64_f32_e32 v[7:8], v3
	v_mul_f64_e32 v[5:6], s[10:11], v[5:6]
	s_delay_alu instid0(VALU_DEP_2) | instskip(NEXT) | instid1(VALU_DEP_2)
	v_mul_f64_e32 v[7:8], s[10:11], v[7:8]
	v_and_or_b32 v3, 0x1ff, v6, v5
	s_delay_alu instid0(VALU_DEP_2)
	v_and_or_b32 v7, 0x1ff, v8, v7
	v_lshrrev_b32_e32 v5, 8, v6
	v_bfe_u32 v9, v6, 20, 11
	v_lshrrev_b32_e32 v10, 8, v8
	v_cmp_ne_u32_e32 vcc_lo, 0, v3
	v_bfe_u32 v11, v8, 20, 11
	v_lshrrev_b32_e32 v6, 16, v6
	v_sub_nc_u32_e32 v12, 0x3f1, v9
	v_add_nc_u32_e32 v9, 0xfffffc10, v9
	s_wait_alu 0xfffd
	v_cndmask_b32_e64 v3, 0, 1, vcc_lo
	v_cmp_ne_u32_e32 vcc_lo, 0, v7
	v_lshrrev_b32_e32 v8, 16, v8
	s_delay_alu instid0(VALU_DEP_3) | instskip(SKIP_4) | instid1(VALU_DEP_3)
	v_and_or_b32 v3, 0xffe, v5, v3
	s_wait_alu 0xfffd
	v_cndmask_b32_e64 v7, 0, 1, vcc_lo
	v_sub_nc_u32_e32 v5, 0x3f1, v11
	v_add_nc_u32_e32 v11, 0xfffffc10, v11
	v_and_or_b32 v7, 0xffe, v10, v7
	v_med3_i32 v10, v12, 0, 13
	v_or_b32_e32 v12, 0x1000, v3
	v_med3_i32 v5, v5, 0, 13
	s_delay_alu instid0(VALU_DEP_4) | instskip(NEXT) | instid1(VALU_DEP_3)
	v_or_b32_e32 v13, 0x1000, v7
	v_lshrrev_b32_e32 v14, v10, v12
	s_delay_alu instid0(VALU_DEP_2) | instskip(NEXT) | instid1(VALU_DEP_2)
	v_lshrrev_b32_e32 v15, v5, v13
	v_lshlrev_b32_e32 v10, v10, v14
	s_delay_alu instid0(VALU_DEP_2) | instskip(NEXT) | instid1(VALU_DEP_2)
	v_lshlrev_b32_e32 v5, v5, v15
	v_cmp_ne_u32_e32 vcc_lo, v10, v12
	v_lshl_or_b32 v12, v9, 12, v3
	s_wait_alu 0xfffd
	v_cndmask_b32_e64 v10, 0, 1, vcc_lo
	v_cmp_ne_u32_e32 vcc_lo, v5, v13
	v_lshl_or_b32 v13, v11, 12, v7
	s_delay_alu instid0(VALU_DEP_3) | instskip(SKIP_3) | instid1(VALU_DEP_2)
	v_or_b32_e32 v10, v14, v10
	s_wait_alu 0xfffd
	v_cndmask_b32_e64 v5, 0, 1, vcc_lo
	v_cmp_gt_i32_e32 vcc_lo, 1, v9
	v_or_b32_e32 v5, v15, v5
	s_wait_alu 0xfffd
	v_cndmask_b32_e32 v10, v12, v10, vcc_lo
	v_cmp_gt_i32_e32 vcc_lo, 1, v11
	s_wait_alu 0xfffd
	s_delay_alu instid0(VALU_DEP_2) | instskip(SKIP_2) | instid1(VALU_DEP_3)
	v_dual_cndmask_b32 v5, v13, v5 :: v_dual_and_b32 v12, 7, v10
	v_cmp_ne_u32_e32 vcc_lo, 0, v3
	v_lshrrev_b32_e32 v10, 2, v10
	v_cmp_eq_u32_e64 s0, 3, v12
	s_delay_alu instid0(VALU_DEP_4)
	v_and_b32_e32 v13, 7, v5
	s_wait_alu 0xfffd
	v_cndmask_b32_e64 v3, 0, 1, vcc_lo
	v_cmp_ne_u32_e32 vcc_lo, 0, v7
	v_lshrrev_b32_e32 v5, 2, v5
	v_cmp_lt_i32_e64 s1, 5, v13
	v_cmp_eq_u32_e64 s2, 3, v13
	s_wait_alu 0xfffd
	v_cndmask_b32_e64 v7, 0, 1, vcc_lo
	v_cmp_lt_i32_e32 vcc_lo, 5, v12
	v_lshl_or_b32 v3, v3, 9, 0x7c00
	s_delay_alu instid0(VALU_DEP_3)
	v_lshl_or_b32 v7, v7, 9, 0x7c00
	s_or_b32 vcc_lo, s0, vcc_lo
	s_wait_alu 0xfffe
	v_add_co_ci_u32_e32 v10, vcc_lo, 0, v10, vcc_lo
	s_or_b32 vcc_lo, s2, s1
	s_wait_alu 0xfffe
	v_add_co_ci_u32_e32 v5, vcc_lo, 0, v5, vcc_lo
	v_cmp_gt_i32_e32 vcc_lo, 31, v9
	s_wait_alu 0xfffd
	v_cndmask_b32_e32 v10, 0x7c00, v10, vcc_lo
	v_cmp_gt_i32_e32 vcc_lo, 31, v11
	s_wait_alu 0xfffd
	v_cndmask_b32_e32 v5, 0x7c00, v5, vcc_lo
	v_cmp_eq_u32_e32 vcc_lo, 0x40f, v9
	s_wait_alu 0xfffd
	v_cndmask_b32_e32 v3, v10, v3, vcc_lo
	v_cmp_eq_u32_e32 vcc_lo, 0x40f, v11
	s_delay_alu instid0(VALU_DEP_2)
	v_and_or_b32 v3, 0x8000, v6, v3
	s_wait_alu 0xfffd
	v_cndmask_b32_e32 v5, v5, v7, vcc_lo
	v_add_co_u32 v1, vcc_lo, v1, s4
	s_wait_alu 0xfffd
	v_add_co_ci_u32_e32 v2, vcc_lo, s5, v2, vcc_lo
	s_delay_alu instid0(VALU_DEP_3) | instskip(SKIP_1) | instid1(VALU_DEP_1)
	v_and_or_b32 v5, 0x8000, v8, v5
	v_and_b32_e32 v3, 0xffff, v3
	v_lshl_or_b32 v3, v5, 16, v3
	v_lshrrev_b32_e32 v5, 16, v4
	global_store_b32 v[1:2], v3, off
	global_load_b32 v3, v32, s[8:9] offset:2160
	s_wait_loadcnt 0x0
	v_lshrrev_b32_e32 v6, 16, v3
	s_delay_alu instid0(VALU_DEP_1) | instskip(SKIP_1) | instid1(VALU_DEP_2)
	v_mul_f16_e32 v7, v5, v6
	v_mul_f16_e32 v6, v4, v6
	v_fmac_f16_e32 v7, v4, v3
	s_delay_alu instid0(VALU_DEP_2) | instskip(NEXT) | instid1(VALU_DEP_2)
	v_fma_f16 v3, v3, v5, -v6
	v_cvt_f32_f16_e32 v4, v7
	s_delay_alu instid0(VALU_DEP_2) | instskip(NEXT) | instid1(VALU_DEP_2)
	v_cvt_f32_f16_e32 v5, v3
	v_cvt_f64_f32_e32 v[3:4], v4
	s_delay_alu instid0(VALU_DEP_2) | instskip(NEXT) | instid1(VALU_DEP_2)
	v_cvt_f64_f32_e32 v[5:6], v5
	v_mul_f64_e32 v[3:4], s[10:11], v[3:4]
	s_delay_alu instid0(VALU_DEP_2) | instskip(NEXT) | instid1(VALU_DEP_2)
	v_mul_f64_e32 v[5:6], s[10:11], v[5:6]
	v_and_or_b32 v3, 0x1ff, v4, v3
	s_delay_alu instid0(VALU_DEP_2)
	v_and_or_b32 v5, 0x1ff, v6, v5
	v_lshrrev_b32_e32 v7, 8, v4
	v_bfe_u32 v8, v4, 20, 11
	v_lshrrev_b32_e32 v9, 8, v6
	v_cmp_ne_u32_e32 vcc_lo, 0, v3
	v_bfe_u32 v10, v6, 20, 11
	v_lshrrev_b32_e32 v4, 16, v4
	v_sub_nc_u32_e32 v11, 0x3f1, v8
	v_add_nc_u32_e32 v8, 0xfffffc10, v8
	s_wait_alu 0xfffd
	v_cndmask_b32_e64 v3, 0, 1, vcc_lo
	v_cmp_ne_u32_e32 vcc_lo, 0, v5
	v_lshrrev_b32_e32 v6, 16, v6
	s_delay_alu instid0(VALU_DEP_3) | instskip(SKIP_4) | instid1(VALU_DEP_3)
	v_and_or_b32 v3, 0xffe, v7, v3
	s_wait_alu 0xfffd
	v_cndmask_b32_e64 v5, 0, 1, vcc_lo
	v_sub_nc_u32_e32 v7, 0x3f1, v10
	v_add_nc_u32_e32 v10, 0xfffffc10, v10
	v_and_or_b32 v5, 0xffe, v9, v5
	v_med3_i32 v9, v11, 0, 13
	v_or_b32_e32 v11, 0x1000, v3
	v_med3_i32 v7, v7, 0, 13
	s_delay_alu instid0(VALU_DEP_4) | instskip(NEXT) | instid1(VALU_DEP_3)
	v_or_b32_e32 v12, 0x1000, v5
	v_lshrrev_b32_e32 v13, v9, v11
	s_delay_alu instid0(VALU_DEP_2) | instskip(NEXT) | instid1(VALU_DEP_2)
	v_lshrrev_b32_e32 v14, v7, v12
	v_lshlrev_b32_e32 v9, v9, v13
	s_delay_alu instid0(VALU_DEP_2) | instskip(NEXT) | instid1(VALU_DEP_2)
	v_lshlrev_b32_e32 v7, v7, v14
	v_cmp_ne_u32_e32 vcc_lo, v9, v11
	v_lshl_or_b32 v11, v8, 12, v3
	s_wait_alu 0xfffd
	v_cndmask_b32_e64 v9, 0, 1, vcc_lo
	v_cmp_ne_u32_e32 vcc_lo, v7, v12
	v_lshl_or_b32 v12, v10, 12, v5
	s_delay_alu instid0(VALU_DEP_3) | instskip(SKIP_3) | instid1(VALU_DEP_2)
	v_or_b32_e32 v9, v13, v9
	s_wait_alu 0xfffd
	v_cndmask_b32_e64 v7, 0, 1, vcc_lo
	v_cmp_gt_i32_e32 vcc_lo, 1, v8
	v_or_b32_e32 v7, v14, v7
	s_wait_alu 0xfffd
	v_cndmask_b32_e32 v9, v11, v9, vcc_lo
	v_cmp_gt_i32_e32 vcc_lo, 1, v10
	s_delay_alu instid0(VALU_DEP_2)
	v_and_b32_e32 v11, 7, v9
	s_wait_alu 0xfffd
	v_cndmask_b32_e32 v7, v12, v7, vcc_lo
	v_cmp_ne_u32_e32 vcc_lo, 0, v3
	v_lshrrev_b32_e32 v9, 2, v9
	v_cmp_eq_u32_e64 s0, 3, v11
	s_delay_alu instid0(VALU_DEP_4)
	v_and_b32_e32 v12, 7, v7
	s_wait_alu 0xfffd
	v_cndmask_b32_e64 v3, 0, 1, vcc_lo
	v_cmp_ne_u32_e32 vcc_lo, 0, v5
	v_lshrrev_b32_e32 v7, 2, v7
	v_cmp_lt_i32_e64 s1, 5, v12
	v_cmp_eq_u32_e64 s2, 3, v12
	s_wait_alu 0xfffd
	v_cndmask_b32_e64 v5, 0, 1, vcc_lo
	v_cmp_lt_i32_e32 vcc_lo, 5, v11
	v_lshl_or_b32 v3, v3, 9, 0x7c00
	s_delay_alu instid0(VALU_DEP_3)
	v_lshl_or_b32 v5, v5, 9, 0x7c00
	s_or_b32 vcc_lo, s0, vcc_lo
	s_wait_alu 0xfffe
	v_add_co_ci_u32_e32 v9, vcc_lo, 0, v9, vcc_lo
	s_or_b32 vcc_lo, s2, s1
	s_wait_alu 0xfffe
	v_add_co_ci_u32_e32 v7, vcc_lo, 0, v7, vcc_lo
	v_cmp_gt_i32_e32 vcc_lo, 31, v8
	s_wait_alu 0xfffd
	v_cndmask_b32_e32 v9, 0x7c00, v9, vcc_lo
	v_cmp_gt_i32_e32 vcc_lo, 31, v10
	s_wait_alu 0xfffd
	v_cndmask_b32_e32 v7, 0x7c00, v7, vcc_lo
	v_cmp_eq_u32_e32 vcc_lo, 0x40f, v8
	s_wait_alu 0xfffd
	v_cndmask_b32_e32 v3, v9, v3, vcc_lo
	v_cmp_eq_u32_e32 vcc_lo, 0x40f, v10
	s_delay_alu instid0(VALU_DEP_2)
	v_and_or_b32 v3, 0x8000, v4, v3
	s_wait_alu 0xfffd
	v_cndmask_b32_e32 v5, v7, v5, vcc_lo
	v_add_co_u32 v1, vcc_lo, v1, s4
	s_wait_alu 0xfffd
	v_add_co_ci_u32_e32 v2, vcc_lo, s5, v2, vcc_lo
	s_delay_alu instid0(VALU_DEP_3) | instskip(SKIP_1) | instid1(VALU_DEP_1)
	v_and_or_b32 v4, 0x8000, v6, v5
	v_and_b32_e32 v3, 0xffff, v3
	v_lshl_or_b32 v3, v4, 16, v3
	global_store_b32 v[1:2], v3, off
	global_load_b32 v5, v32, s[8:9] offset:2376
	ds_load_2addr_b32 v[3:4], v0 offset0:82 offset1:136
	s_wait_dscnt 0x0
	v_lshrrev_b32_e32 v6, 16, v3
	s_wait_loadcnt 0x0
	v_lshrrev_b32_e32 v7, 16, v5
	s_delay_alu instid0(VALU_DEP_1) | instskip(SKIP_1) | instid1(VALU_DEP_2)
	v_mul_f16_e32 v8, v6, v7
	v_mul_f16_e32 v7, v3, v7
	v_fmac_f16_e32 v8, v3, v5
	s_delay_alu instid0(VALU_DEP_2) | instskip(NEXT) | instid1(VALU_DEP_2)
	v_fma_f16 v3, v5, v6, -v7
	v_cvt_f32_f16_e32 v5, v8
	s_delay_alu instid0(VALU_DEP_2) | instskip(NEXT) | instid1(VALU_DEP_2)
	v_cvt_f32_f16_e32 v3, v3
	v_cvt_f64_f32_e32 v[5:6], v5
	s_delay_alu instid0(VALU_DEP_2) | instskip(NEXT) | instid1(VALU_DEP_2)
	v_cvt_f64_f32_e32 v[7:8], v3
	v_mul_f64_e32 v[5:6], s[10:11], v[5:6]
	s_delay_alu instid0(VALU_DEP_2) | instskip(NEXT) | instid1(VALU_DEP_2)
	v_mul_f64_e32 v[7:8], s[10:11], v[7:8]
	v_and_or_b32 v3, 0x1ff, v6, v5
	s_delay_alu instid0(VALU_DEP_2)
	v_and_or_b32 v7, 0x1ff, v8, v7
	v_lshrrev_b32_e32 v5, 8, v6
	v_bfe_u32 v9, v6, 20, 11
	v_lshrrev_b32_e32 v10, 8, v8
	v_cmp_ne_u32_e32 vcc_lo, 0, v3
	v_bfe_u32 v11, v8, 20, 11
	v_lshrrev_b32_e32 v6, 16, v6
	v_sub_nc_u32_e32 v12, 0x3f1, v9
	v_add_nc_u32_e32 v9, 0xfffffc10, v9
	s_wait_alu 0xfffd
	v_cndmask_b32_e64 v3, 0, 1, vcc_lo
	v_cmp_ne_u32_e32 vcc_lo, 0, v7
	v_lshrrev_b32_e32 v8, 16, v8
	s_delay_alu instid0(VALU_DEP_3) | instskip(SKIP_4) | instid1(VALU_DEP_3)
	v_and_or_b32 v3, 0xffe, v5, v3
	s_wait_alu 0xfffd
	v_cndmask_b32_e64 v7, 0, 1, vcc_lo
	v_sub_nc_u32_e32 v5, 0x3f1, v11
	v_add_nc_u32_e32 v11, 0xfffffc10, v11
	v_and_or_b32 v7, 0xffe, v10, v7
	v_med3_i32 v10, v12, 0, 13
	v_or_b32_e32 v12, 0x1000, v3
	v_med3_i32 v5, v5, 0, 13
	s_delay_alu instid0(VALU_DEP_4) | instskip(NEXT) | instid1(VALU_DEP_3)
	v_or_b32_e32 v13, 0x1000, v7
	v_lshrrev_b32_e32 v14, v10, v12
	s_delay_alu instid0(VALU_DEP_2) | instskip(NEXT) | instid1(VALU_DEP_2)
	v_lshrrev_b32_e32 v15, v5, v13
	v_lshlrev_b32_e32 v10, v10, v14
	s_delay_alu instid0(VALU_DEP_2) | instskip(NEXT) | instid1(VALU_DEP_2)
	v_lshlrev_b32_e32 v5, v5, v15
	v_cmp_ne_u32_e32 vcc_lo, v10, v12
	v_lshl_or_b32 v12, v9, 12, v3
	s_wait_alu 0xfffd
	v_cndmask_b32_e64 v10, 0, 1, vcc_lo
	v_cmp_ne_u32_e32 vcc_lo, v5, v13
	v_lshl_or_b32 v13, v11, 12, v7
	s_delay_alu instid0(VALU_DEP_3) | instskip(SKIP_3) | instid1(VALU_DEP_2)
	v_or_b32_e32 v10, v14, v10
	s_wait_alu 0xfffd
	v_cndmask_b32_e64 v5, 0, 1, vcc_lo
	v_cmp_gt_i32_e32 vcc_lo, 1, v9
	v_or_b32_e32 v5, v15, v5
	s_wait_alu 0xfffd
	v_cndmask_b32_e32 v10, v12, v10, vcc_lo
	v_cmp_gt_i32_e32 vcc_lo, 1, v11
	s_wait_alu 0xfffd
	s_delay_alu instid0(VALU_DEP_2) | instskip(SKIP_2) | instid1(VALU_DEP_3)
	v_dual_cndmask_b32 v5, v13, v5 :: v_dual_and_b32 v12, 7, v10
	v_cmp_ne_u32_e32 vcc_lo, 0, v3
	v_lshrrev_b32_e32 v10, 2, v10
	v_cmp_eq_u32_e64 s0, 3, v12
	s_delay_alu instid0(VALU_DEP_4)
	v_and_b32_e32 v13, 7, v5
	s_wait_alu 0xfffd
	v_cndmask_b32_e64 v3, 0, 1, vcc_lo
	v_cmp_ne_u32_e32 vcc_lo, 0, v7
	v_lshrrev_b32_e32 v5, 2, v5
	v_cmp_lt_i32_e64 s1, 5, v13
	v_cmp_eq_u32_e64 s2, 3, v13
	s_wait_alu 0xfffd
	v_cndmask_b32_e64 v7, 0, 1, vcc_lo
	v_cmp_lt_i32_e32 vcc_lo, 5, v12
	v_lshl_or_b32 v3, v3, 9, 0x7c00
	s_delay_alu instid0(VALU_DEP_3)
	v_lshl_or_b32 v7, v7, 9, 0x7c00
	s_or_b32 vcc_lo, s0, vcc_lo
	s_wait_alu 0xfffe
	v_add_co_ci_u32_e32 v10, vcc_lo, 0, v10, vcc_lo
	s_or_b32 vcc_lo, s2, s1
	s_wait_alu 0xfffe
	v_add_co_ci_u32_e32 v5, vcc_lo, 0, v5, vcc_lo
	v_cmp_gt_i32_e32 vcc_lo, 31, v9
	s_wait_alu 0xfffd
	v_cndmask_b32_e32 v10, 0x7c00, v10, vcc_lo
	v_cmp_gt_i32_e32 vcc_lo, 31, v11
	s_wait_alu 0xfffd
	v_cndmask_b32_e32 v5, 0x7c00, v5, vcc_lo
	v_cmp_eq_u32_e32 vcc_lo, 0x40f, v9
	s_wait_alu 0xfffd
	v_cndmask_b32_e32 v3, v10, v3, vcc_lo
	v_cmp_eq_u32_e32 vcc_lo, 0x40f, v11
	s_delay_alu instid0(VALU_DEP_2)
	v_and_or_b32 v3, 0x8000, v6, v3
	s_wait_alu 0xfffd
	v_cndmask_b32_e32 v5, v5, v7, vcc_lo
	v_add_co_u32 v1, vcc_lo, v1, s4
	s_wait_alu 0xfffd
	v_add_co_ci_u32_e32 v2, vcc_lo, s5, v2, vcc_lo
	s_delay_alu instid0(VALU_DEP_3) | instskip(SKIP_1) | instid1(VALU_DEP_1)
	v_and_or_b32 v5, 0x8000, v8, v5
	v_and_b32_e32 v3, 0xffff, v3
	v_lshl_or_b32 v3, v5, 16, v3
	v_lshrrev_b32_e32 v5, 16, v4
	global_store_b32 v[1:2], v3, off
	global_load_b32 v3, v32, s[8:9] offset:2592
	s_wait_loadcnt 0x0
	v_lshrrev_b32_e32 v6, 16, v3
	s_delay_alu instid0(VALU_DEP_1) | instskip(SKIP_1) | instid1(VALU_DEP_2)
	v_mul_f16_e32 v7, v5, v6
	v_mul_f16_e32 v6, v4, v6
	v_fmac_f16_e32 v7, v4, v3
	s_delay_alu instid0(VALU_DEP_2) | instskip(NEXT) | instid1(VALU_DEP_2)
	v_fma_f16 v3, v3, v5, -v6
	v_cvt_f32_f16_e32 v4, v7
	s_delay_alu instid0(VALU_DEP_2) | instskip(NEXT) | instid1(VALU_DEP_2)
	v_cvt_f32_f16_e32 v5, v3
	v_cvt_f64_f32_e32 v[3:4], v4
	s_delay_alu instid0(VALU_DEP_2) | instskip(NEXT) | instid1(VALU_DEP_2)
	v_cvt_f64_f32_e32 v[5:6], v5
	v_mul_f64_e32 v[3:4], s[10:11], v[3:4]
	s_delay_alu instid0(VALU_DEP_2) | instskip(NEXT) | instid1(VALU_DEP_2)
	v_mul_f64_e32 v[5:6], s[10:11], v[5:6]
	v_and_or_b32 v3, 0x1ff, v4, v3
	s_delay_alu instid0(VALU_DEP_2)
	v_and_or_b32 v5, 0x1ff, v6, v5
	v_lshrrev_b32_e32 v7, 8, v4
	v_bfe_u32 v8, v4, 20, 11
	v_lshrrev_b32_e32 v9, 8, v6
	v_cmp_ne_u32_e32 vcc_lo, 0, v3
	v_bfe_u32 v10, v6, 20, 11
	v_lshrrev_b32_e32 v4, 16, v4
	v_sub_nc_u32_e32 v11, 0x3f1, v8
	v_add_nc_u32_e32 v8, 0xfffffc10, v8
	s_wait_alu 0xfffd
	v_cndmask_b32_e64 v3, 0, 1, vcc_lo
	v_cmp_ne_u32_e32 vcc_lo, 0, v5
	v_lshrrev_b32_e32 v6, 16, v6
	s_delay_alu instid0(VALU_DEP_3) | instskip(SKIP_4) | instid1(VALU_DEP_3)
	v_and_or_b32 v3, 0xffe, v7, v3
	s_wait_alu 0xfffd
	v_cndmask_b32_e64 v5, 0, 1, vcc_lo
	v_sub_nc_u32_e32 v7, 0x3f1, v10
	v_add_nc_u32_e32 v10, 0xfffffc10, v10
	v_and_or_b32 v5, 0xffe, v9, v5
	v_med3_i32 v9, v11, 0, 13
	v_or_b32_e32 v11, 0x1000, v3
	v_med3_i32 v7, v7, 0, 13
	s_delay_alu instid0(VALU_DEP_4) | instskip(NEXT) | instid1(VALU_DEP_3)
	v_or_b32_e32 v12, 0x1000, v5
	v_lshrrev_b32_e32 v13, v9, v11
	s_delay_alu instid0(VALU_DEP_2) | instskip(NEXT) | instid1(VALU_DEP_2)
	v_lshrrev_b32_e32 v14, v7, v12
	v_lshlrev_b32_e32 v9, v9, v13
	s_delay_alu instid0(VALU_DEP_2) | instskip(NEXT) | instid1(VALU_DEP_2)
	v_lshlrev_b32_e32 v7, v7, v14
	v_cmp_ne_u32_e32 vcc_lo, v9, v11
	v_lshl_or_b32 v11, v8, 12, v3
	s_wait_alu 0xfffd
	v_cndmask_b32_e64 v9, 0, 1, vcc_lo
	v_cmp_ne_u32_e32 vcc_lo, v7, v12
	v_lshl_or_b32 v12, v10, 12, v5
	s_delay_alu instid0(VALU_DEP_3) | instskip(SKIP_3) | instid1(VALU_DEP_2)
	v_or_b32_e32 v9, v13, v9
	s_wait_alu 0xfffd
	v_cndmask_b32_e64 v7, 0, 1, vcc_lo
	v_cmp_gt_i32_e32 vcc_lo, 1, v8
	v_or_b32_e32 v7, v14, v7
	s_wait_alu 0xfffd
	v_cndmask_b32_e32 v9, v11, v9, vcc_lo
	v_cmp_gt_i32_e32 vcc_lo, 1, v10
	s_delay_alu instid0(VALU_DEP_2)
	v_and_b32_e32 v11, 7, v9
	s_wait_alu 0xfffd
	v_cndmask_b32_e32 v7, v12, v7, vcc_lo
	v_cmp_ne_u32_e32 vcc_lo, 0, v3
	v_lshrrev_b32_e32 v9, 2, v9
	v_cmp_eq_u32_e64 s0, 3, v11
	s_delay_alu instid0(VALU_DEP_4)
	v_and_b32_e32 v12, 7, v7
	s_wait_alu 0xfffd
	v_cndmask_b32_e64 v3, 0, 1, vcc_lo
	v_cmp_ne_u32_e32 vcc_lo, 0, v5
	v_lshrrev_b32_e32 v7, 2, v7
	v_cmp_lt_i32_e64 s1, 5, v12
	v_cmp_eq_u32_e64 s2, 3, v12
	s_wait_alu 0xfffd
	v_cndmask_b32_e64 v5, 0, 1, vcc_lo
	v_cmp_lt_i32_e32 vcc_lo, 5, v11
	v_lshl_or_b32 v3, v3, 9, 0x7c00
	s_delay_alu instid0(VALU_DEP_3)
	v_lshl_or_b32 v5, v5, 9, 0x7c00
	s_or_b32 vcc_lo, s0, vcc_lo
	s_wait_alu 0xfffe
	v_add_co_ci_u32_e32 v9, vcc_lo, 0, v9, vcc_lo
	s_or_b32 vcc_lo, s2, s1
	s_wait_alu 0xfffe
	v_add_co_ci_u32_e32 v7, vcc_lo, 0, v7, vcc_lo
	v_cmp_gt_i32_e32 vcc_lo, 31, v8
	s_wait_alu 0xfffd
	v_cndmask_b32_e32 v9, 0x7c00, v9, vcc_lo
	v_cmp_gt_i32_e32 vcc_lo, 31, v10
	s_wait_alu 0xfffd
	v_cndmask_b32_e32 v7, 0x7c00, v7, vcc_lo
	v_cmp_eq_u32_e32 vcc_lo, 0x40f, v8
	s_wait_alu 0xfffd
	v_cndmask_b32_e32 v3, v9, v3, vcc_lo
	v_cmp_eq_u32_e32 vcc_lo, 0x40f, v10
	s_delay_alu instid0(VALU_DEP_2)
	v_and_or_b32 v3, 0x8000, v4, v3
	s_wait_alu 0xfffd
	v_cndmask_b32_e32 v5, v7, v5, vcc_lo
	v_add_co_u32 v1, vcc_lo, v1, s4
	s_wait_alu 0xfffd
	v_add_co_ci_u32_e32 v2, vcc_lo, s5, v2, vcc_lo
	s_delay_alu instid0(VALU_DEP_3) | instskip(SKIP_1) | instid1(VALU_DEP_1)
	v_and_or_b32 v4, 0x8000, v6, v5
	v_and_b32_e32 v3, 0xffff, v3
	v_lshl_or_b32 v3, v4, 16, v3
	global_store_b32 v[1:2], v3, off
	global_load_b32 v5, v32, s[8:9] offset:2808
	ds_load_2addr_b32 v[3:4], v0 offset0:190 offset1:244
	s_wait_dscnt 0x0
	v_lshrrev_b32_e32 v0, 16, v3
	s_wait_loadcnt 0x0
	v_lshrrev_b32_e32 v6, 16, v5
	s_delay_alu instid0(VALU_DEP_1) | instskip(SKIP_1) | instid1(VALU_DEP_2)
	v_mul_f16_e32 v7, v0, v6
	v_mul_f16_e32 v6, v3, v6
	v_fmac_f16_e32 v7, v3, v5
	s_delay_alu instid0(VALU_DEP_2) | instskip(NEXT) | instid1(VALU_DEP_2)
	v_fma_f16 v0, v5, v0, -v6
	v_cvt_f32_f16_e32 v3, v7
	s_delay_alu instid0(VALU_DEP_2) | instskip(NEXT) | instid1(VALU_DEP_2)
	v_cvt_f32_f16_e32 v0, v0
	v_cvt_f64_f32_e32 v[5:6], v3
	s_delay_alu instid0(VALU_DEP_2) | instskip(NEXT) | instid1(VALU_DEP_2)
	v_cvt_f64_f32_e32 v[7:8], v0
	v_mul_f64_e32 v[5:6], s[10:11], v[5:6]
	s_delay_alu instid0(VALU_DEP_2) | instskip(NEXT) | instid1(VALU_DEP_2)
	v_mul_f64_e32 v[7:8], s[10:11], v[7:8]
	v_and_or_b32 v0, 0x1ff, v6, v5
	s_delay_alu instid0(VALU_DEP_2)
	v_and_or_b32 v7, 0x1ff, v8, v7
	v_lshrrev_b32_e32 v3, 8, v6
	v_bfe_u32 v5, v6, 20, 11
	v_lshrrev_b32_e32 v9, 8, v8
	v_cmp_ne_u32_e32 vcc_lo, 0, v0
	v_bfe_u32 v10, v8, 20, 11
	v_lshrrev_b32_e32 v6, 16, v6
	v_sub_nc_u32_e32 v11, 0x3f1, v5
	v_add_nc_u32_e32 v5, 0xfffffc10, v5
	s_wait_alu 0xfffd
	v_cndmask_b32_e64 v0, 0, 1, vcc_lo
	v_cmp_ne_u32_e32 vcc_lo, 0, v7
	s_delay_alu instid0(VALU_DEP_2) | instskip(SKIP_4) | instid1(VALU_DEP_3)
	v_and_or_b32 v0, 0xffe, v3, v0
	s_wait_alu 0xfffd
	v_cndmask_b32_e64 v7, 0, 1, vcc_lo
	v_sub_nc_u32_e32 v3, 0x3f1, v10
	v_add_nc_u32_e32 v10, 0xfffffc10, v10
	v_and_or_b32 v7, 0xffe, v9, v7
	v_med3_i32 v9, v11, 0, 13
	v_or_b32_e32 v11, 0x1000, v0
	v_med3_i32 v3, v3, 0, 13
	s_delay_alu instid0(VALU_DEP_4) | instskip(NEXT) | instid1(VALU_DEP_3)
	v_or_b32_e32 v12, 0x1000, v7
	v_lshrrev_b32_e32 v13, v9, v11
	s_delay_alu instid0(VALU_DEP_2) | instskip(NEXT) | instid1(VALU_DEP_2)
	v_lshrrev_b32_e32 v14, v3, v12
	v_lshlrev_b32_e32 v9, v9, v13
	s_delay_alu instid0(VALU_DEP_2) | instskip(NEXT) | instid1(VALU_DEP_2)
	v_lshlrev_b32_e32 v3, v3, v14
	v_cmp_ne_u32_e32 vcc_lo, v9, v11
	v_lshl_or_b32 v11, v5, 12, v0
	s_wait_alu 0xfffd
	v_cndmask_b32_e64 v9, 0, 1, vcc_lo
	v_cmp_ne_u32_e32 vcc_lo, v3, v12
	v_lshl_or_b32 v12, v10, 12, v7
	s_delay_alu instid0(VALU_DEP_3) | instskip(SKIP_3) | instid1(VALU_DEP_2)
	v_or_b32_e32 v9, v13, v9
	s_wait_alu 0xfffd
	v_cndmask_b32_e64 v3, 0, 1, vcc_lo
	v_cmp_gt_i32_e32 vcc_lo, 1, v5
	v_or_b32_e32 v3, v14, v3
	s_wait_alu 0xfffd
	v_cndmask_b32_e32 v9, v11, v9, vcc_lo
	v_cmp_gt_i32_e32 vcc_lo, 1, v10
	s_delay_alu instid0(VALU_DEP_2)
	v_and_b32_e32 v11, 7, v9
	s_wait_alu 0xfffd
	v_cndmask_b32_e32 v3, v12, v3, vcc_lo
	v_cmp_ne_u32_e32 vcc_lo, 0, v0
	v_lshrrev_b32_e32 v9, 2, v9
	v_cmp_eq_u32_e64 s0, 3, v11
	s_delay_alu instid0(VALU_DEP_4)
	v_and_b32_e32 v12, 7, v3
	s_wait_alu 0xfffd
	v_cndmask_b32_e64 v0, 0, 1, vcc_lo
	v_cmp_ne_u32_e32 vcc_lo, 0, v7
	v_lshrrev_b32_e32 v3, 2, v3
	v_cmp_lt_i32_e64 s1, 5, v12
	v_cmp_eq_u32_e64 s2, 3, v12
	s_wait_alu 0xfffd
	v_cndmask_b32_e64 v7, 0, 1, vcc_lo
	v_cmp_lt_i32_e32 vcc_lo, 5, v11
	v_lshl_or_b32 v0, v0, 9, 0x7c00
	s_delay_alu instid0(VALU_DEP_3)
	v_lshl_or_b32 v7, v7, 9, 0x7c00
	s_or_b32 vcc_lo, s0, vcc_lo
	s_wait_alu 0xfffe
	v_add_co_ci_u32_e32 v9, vcc_lo, 0, v9, vcc_lo
	s_or_b32 vcc_lo, s2, s1
	s_wait_alu 0xfffe
	v_add_co_ci_u32_e32 v3, vcc_lo, 0, v3, vcc_lo
	v_cmp_gt_i32_e32 vcc_lo, 31, v5
	s_wait_alu 0xfffd
	v_cndmask_b32_e32 v9, 0x7c00, v9, vcc_lo
	v_cmp_gt_i32_e32 vcc_lo, 31, v10
	s_wait_alu 0xfffd
	v_cndmask_b32_e32 v3, 0x7c00, v3, vcc_lo
	v_cmp_eq_u32_e32 vcc_lo, 0x40f, v5
	v_lshrrev_b32_e32 v5, 16, v8
	s_wait_alu 0xfffd
	v_cndmask_b32_e32 v0, v9, v0, vcc_lo
	v_cmp_eq_u32_e32 vcc_lo, 0x40f, v10
	s_delay_alu instid0(VALU_DEP_2) | instskip(SKIP_2) | instid1(VALU_DEP_1)
	v_and_or_b32 v0, 0x8000, v6, v0
	s_wait_alu 0xfffd
	v_cndmask_b32_e32 v3, v3, v7, vcc_lo
	v_and_or_b32 v3, 0x8000, v5, v3
	s_delay_alu instid0(VALU_DEP_3) | instskip(SKIP_3) | instid1(VALU_DEP_3)
	v_and_b32_e32 v5, 0xffff, v0
	v_add_co_u32 v0, vcc_lo, v1, s4
	s_wait_alu 0xfffd
	v_add_co_ci_u32_e32 v1, vcc_lo, s5, v2, vcc_lo
	v_lshl_or_b32 v2, v3, 16, v5
	v_lshrrev_b32_e32 v3, 16, v4
	global_store_b32 v[0:1], v2, off
	global_load_b32 v2, v32, s[8:9] offset:3024
	s_wait_loadcnt 0x0
	v_lshrrev_b32_e32 v5, 16, v2
	s_delay_alu instid0(VALU_DEP_1) | instskip(SKIP_1) | instid1(VALU_DEP_2)
	v_mul_f16_e32 v6, v3, v5
	v_mul_f16_e32 v5, v4, v5
	v_fmac_f16_e32 v6, v4, v2
	s_delay_alu instid0(VALU_DEP_2) | instskip(NEXT) | instid1(VALU_DEP_2)
	v_fma_f16 v2, v2, v3, -v5
	v_cvt_f32_f16_e32 v3, v6
	s_delay_alu instid0(VALU_DEP_2) | instskip(NEXT) | instid1(VALU_DEP_2)
	v_cvt_f32_f16_e32 v4, v2
	v_cvt_f64_f32_e32 v[2:3], v3
	s_delay_alu instid0(VALU_DEP_2) | instskip(NEXT) | instid1(VALU_DEP_2)
	v_cvt_f64_f32_e32 v[4:5], v4
	v_mul_f64_e32 v[2:3], s[10:11], v[2:3]
	s_delay_alu instid0(VALU_DEP_2) | instskip(NEXT) | instid1(VALU_DEP_2)
	v_mul_f64_e32 v[4:5], s[10:11], v[4:5]
	v_and_or_b32 v2, 0x1ff, v3, v2
	s_delay_alu instid0(VALU_DEP_2)
	v_and_or_b32 v4, 0x1ff, v5, v4
	v_lshrrev_b32_e32 v6, 8, v3
	v_bfe_u32 v7, v3, 20, 11
	v_lshrrev_b32_e32 v8, 8, v5
	v_cmp_ne_u32_e32 vcc_lo, 0, v2
	v_bfe_u32 v9, v5, 20, 11
	v_lshrrev_b32_e32 v3, 16, v3
	v_sub_nc_u32_e32 v10, 0x3f1, v7
	v_add_nc_u32_e32 v7, 0xfffffc10, v7
	s_wait_alu 0xfffd
	v_cndmask_b32_e64 v2, 0, 1, vcc_lo
	v_cmp_ne_u32_e32 vcc_lo, 0, v4
	v_lshrrev_b32_e32 v5, 16, v5
	s_delay_alu instid0(VALU_DEP_3) | instskip(SKIP_4) | instid1(VALU_DEP_3)
	v_and_or_b32 v2, 0xffe, v6, v2
	s_wait_alu 0xfffd
	v_cndmask_b32_e64 v4, 0, 1, vcc_lo
	v_sub_nc_u32_e32 v6, 0x3f1, v9
	v_add_nc_u32_e32 v9, 0xfffffc10, v9
	v_and_or_b32 v4, 0xffe, v8, v4
	v_med3_i32 v8, v10, 0, 13
	v_or_b32_e32 v10, 0x1000, v2
	v_med3_i32 v6, v6, 0, 13
	s_delay_alu instid0(VALU_DEP_4) | instskip(NEXT) | instid1(VALU_DEP_3)
	v_or_b32_e32 v11, 0x1000, v4
	v_lshrrev_b32_e32 v12, v8, v10
	s_delay_alu instid0(VALU_DEP_2) | instskip(NEXT) | instid1(VALU_DEP_2)
	v_lshrrev_b32_e32 v13, v6, v11
	v_lshlrev_b32_e32 v8, v8, v12
	s_delay_alu instid0(VALU_DEP_2) | instskip(NEXT) | instid1(VALU_DEP_2)
	v_lshlrev_b32_e32 v6, v6, v13
	v_cmp_ne_u32_e32 vcc_lo, v8, v10
	v_lshl_or_b32 v10, v7, 12, v2
	s_wait_alu 0xfffd
	v_cndmask_b32_e64 v8, 0, 1, vcc_lo
	v_cmp_ne_u32_e32 vcc_lo, v6, v11
	v_lshl_or_b32 v11, v9, 12, v4
	s_delay_alu instid0(VALU_DEP_3) | instskip(SKIP_3) | instid1(VALU_DEP_2)
	v_or_b32_e32 v8, v12, v8
	s_wait_alu 0xfffd
	v_cndmask_b32_e64 v6, 0, 1, vcc_lo
	v_cmp_gt_i32_e32 vcc_lo, 1, v7
	v_or_b32_e32 v6, v13, v6
	s_wait_alu 0xfffd
	v_cndmask_b32_e32 v8, v10, v8, vcc_lo
	v_cmp_gt_i32_e32 vcc_lo, 1, v9
	s_delay_alu instid0(VALU_DEP_2)
	v_and_b32_e32 v10, 7, v8
	s_wait_alu 0xfffd
	v_cndmask_b32_e32 v6, v11, v6, vcc_lo
	v_cmp_ne_u32_e32 vcc_lo, 0, v2
	v_lshrrev_b32_e32 v8, 2, v8
	v_cmp_eq_u32_e64 s0, 3, v10
	s_delay_alu instid0(VALU_DEP_4)
	v_and_b32_e32 v11, 7, v6
	s_wait_alu 0xfffd
	v_cndmask_b32_e64 v2, 0, 1, vcc_lo
	v_cmp_ne_u32_e32 vcc_lo, 0, v4
	v_lshrrev_b32_e32 v6, 2, v6
	v_cmp_lt_i32_e64 s1, 5, v11
	v_cmp_eq_u32_e64 s2, 3, v11
	s_wait_alu 0xfffd
	v_cndmask_b32_e64 v4, 0, 1, vcc_lo
	v_cmp_lt_i32_e32 vcc_lo, 5, v10
	v_lshl_or_b32 v2, v2, 9, 0x7c00
	s_delay_alu instid0(VALU_DEP_3)
	v_lshl_or_b32 v4, v4, 9, 0x7c00
	s_or_b32 vcc_lo, s0, vcc_lo
	s_wait_alu 0xfffe
	v_add_co_ci_u32_e32 v8, vcc_lo, 0, v8, vcc_lo
	s_or_b32 vcc_lo, s2, s1
	s_wait_alu 0xfffe
	v_add_co_ci_u32_e32 v6, vcc_lo, 0, v6, vcc_lo
	v_cmp_gt_i32_e32 vcc_lo, 31, v7
	s_wait_alu 0xfffd
	v_cndmask_b32_e32 v8, 0x7c00, v8, vcc_lo
	v_cmp_gt_i32_e32 vcc_lo, 31, v9
	s_wait_alu 0xfffd
	v_cndmask_b32_e32 v6, 0x7c00, v6, vcc_lo
	v_cmp_eq_u32_e32 vcc_lo, 0x40f, v7
	s_wait_alu 0xfffd
	v_cndmask_b32_e32 v2, v8, v2, vcc_lo
	v_cmp_eq_u32_e32 vcc_lo, 0x40f, v9
	s_delay_alu instid0(VALU_DEP_2)
	v_and_or_b32 v2, 0x8000, v3, v2
	s_wait_alu 0xfffd
	v_cndmask_b32_e32 v4, v6, v4, vcc_lo
	v_add_co_u32 v0, vcc_lo, v0, s4
	s_wait_alu 0xfffd
	v_add_co_ci_u32_e32 v1, vcc_lo, s5, v1, vcc_lo
	s_delay_alu instid0(VALU_DEP_3) | instskip(SKIP_1) | instid1(VALU_DEP_1)
	v_and_or_b32 v3, 0x8000, v5, v4
	v_and_b32_e32 v2, 0xffff, v2
	v_lshl_or_b32 v2, v3, 16, v2
	global_store_b32 v[0:1], v2, off
	global_load_b32 v4, v32, s[8:9] offset:3240
	v_add_nc_u32_e32 v2, 0xc00, v32
	ds_load_2addr_b32 v[2:3], v2 offset0:42 offset1:96
	s_wait_dscnt 0x0
	v_lshrrev_b32_e32 v5, 16, v2
	s_wait_loadcnt 0x0
	v_lshrrev_b32_e32 v6, 16, v4
	s_delay_alu instid0(VALU_DEP_1) | instskip(SKIP_1) | instid1(VALU_DEP_2)
	v_mul_f16_e32 v7, v5, v6
	v_mul_f16_e32 v6, v2, v6
	v_fmac_f16_e32 v7, v2, v4
	s_delay_alu instid0(VALU_DEP_2) | instskip(NEXT) | instid1(VALU_DEP_2)
	v_fma_f16 v2, v4, v5, -v6
	v_cvt_f32_f16_e32 v4, v7
	s_delay_alu instid0(VALU_DEP_2) | instskip(NEXT) | instid1(VALU_DEP_2)
	v_cvt_f32_f16_e32 v2, v2
	v_cvt_f64_f32_e32 v[4:5], v4
	s_delay_alu instid0(VALU_DEP_2) | instskip(NEXT) | instid1(VALU_DEP_2)
	v_cvt_f64_f32_e32 v[6:7], v2
	v_mul_f64_e32 v[4:5], s[10:11], v[4:5]
	s_delay_alu instid0(VALU_DEP_2) | instskip(NEXT) | instid1(VALU_DEP_2)
	v_mul_f64_e32 v[6:7], s[10:11], v[6:7]
	v_and_or_b32 v2, 0x1ff, v5, v4
	s_delay_alu instid0(VALU_DEP_2)
	v_and_or_b32 v6, 0x1ff, v7, v6
	v_lshrrev_b32_e32 v4, 8, v5
	v_bfe_u32 v8, v5, 20, 11
	v_lshrrev_b32_e32 v9, 8, v7
	v_cmp_ne_u32_e32 vcc_lo, 0, v2
	v_bfe_u32 v10, v7, 20, 11
	v_lshrrev_b32_e32 v5, 16, v5
	v_sub_nc_u32_e32 v11, 0x3f1, v8
	v_add_nc_u32_e32 v8, 0xfffffc10, v8
	s_wait_alu 0xfffd
	v_cndmask_b32_e64 v2, 0, 1, vcc_lo
	v_cmp_ne_u32_e32 vcc_lo, 0, v6
	v_lshrrev_b32_e32 v7, 16, v7
	s_delay_alu instid0(VALU_DEP_3) | instskip(SKIP_4) | instid1(VALU_DEP_3)
	v_and_or_b32 v2, 0xffe, v4, v2
	s_wait_alu 0xfffd
	v_cndmask_b32_e64 v6, 0, 1, vcc_lo
	v_sub_nc_u32_e32 v4, 0x3f1, v10
	v_add_nc_u32_e32 v10, 0xfffffc10, v10
	v_and_or_b32 v6, 0xffe, v9, v6
	v_med3_i32 v9, v11, 0, 13
	v_or_b32_e32 v11, 0x1000, v2
	v_med3_i32 v4, v4, 0, 13
	s_delay_alu instid0(VALU_DEP_4) | instskip(NEXT) | instid1(VALU_DEP_3)
	v_or_b32_e32 v12, 0x1000, v6
	v_lshrrev_b32_e32 v13, v9, v11
	s_delay_alu instid0(VALU_DEP_2) | instskip(NEXT) | instid1(VALU_DEP_2)
	v_lshrrev_b32_e32 v14, v4, v12
	v_lshlrev_b32_e32 v9, v9, v13
	s_delay_alu instid0(VALU_DEP_2) | instskip(NEXT) | instid1(VALU_DEP_2)
	v_lshlrev_b32_e32 v4, v4, v14
	v_cmp_ne_u32_e32 vcc_lo, v9, v11
	v_lshl_or_b32 v11, v8, 12, v2
	s_wait_alu 0xfffd
	v_cndmask_b32_e64 v9, 0, 1, vcc_lo
	v_cmp_ne_u32_e32 vcc_lo, v4, v12
	v_lshl_or_b32 v12, v10, 12, v6
	s_delay_alu instid0(VALU_DEP_3) | instskip(SKIP_3) | instid1(VALU_DEP_2)
	v_or_b32_e32 v9, v13, v9
	s_wait_alu 0xfffd
	v_cndmask_b32_e64 v4, 0, 1, vcc_lo
	v_cmp_gt_i32_e32 vcc_lo, 1, v8
	v_or_b32_e32 v4, v14, v4
	s_wait_alu 0xfffd
	v_cndmask_b32_e32 v9, v11, v9, vcc_lo
	v_cmp_gt_i32_e32 vcc_lo, 1, v10
	s_wait_alu 0xfffd
	v_cndmask_b32_e32 v4, v12, v4, vcc_lo
	v_cmp_ne_u32_e32 vcc_lo, 0, v2
	s_delay_alu instid0(VALU_DEP_2)
	v_and_b32_e32 v12, 7, v4
	s_wait_alu 0xfffd
	v_cndmask_b32_e64 v2, 0, 1, vcc_lo
	v_cmp_ne_u32_e32 vcc_lo, 0, v6
	v_lshrrev_b32_e32 v4, 2, v4
	v_cmp_lt_i32_e64 s1, 5, v12
	s_delay_alu instid0(VALU_DEP_4)
	v_lshl_or_b32 v2, v2, 9, 0x7c00
	v_and_b32_e32 v11, 7, v9
	s_wait_alu 0xfffd
	v_cndmask_b32_e64 v6, 0, 1, vcc_lo
	v_lshrrev_b32_e32 v9, 2, v9
	v_cmp_eq_u32_e64 s2, 3, v12
	v_cmp_lt_i32_e32 vcc_lo, 5, v11
	v_cmp_eq_u32_e64 s0, 3, v11
	v_lshl_or_b32 v6, v6, 9, 0x7c00
	s_delay_alu instid0(VALU_DEP_2)
	s_or_b32 vcc_lo, s0, vcc_lo
	s_wait_alu 0xfffe
	v_add_co_ci_u32_e32 v9, vcc_lo, 0, v9, vcc_lo
	s_or_b32 vcc_lo, s2, s1
	s_wait_alu 0xfffe
	v_add_co_ci_u32_e32 v4, vcc_lo, 0, v4, vcc_lo
	v_cmp_gt_i32_e32 vcc_lo, 31, v8
	s_wait_alu 0xfffd
	v_cndmask_b32_e32 v9, 0x7c00, v9, vcc_lo
	v_cmp_gt_i32_e32 vcc_lo, 31, v10
	s_wait_alu 0xfffd
	v_cndmask_b32_e32 v4, 0x7c00, v4, vcc_lo
	v_cmp_eq_u32_e32 vcc_lo, 0x40f, v8
	s_wait_alu 0xfffd
	v_cndmask_b32_e32 v2, v9, v2, vcc_lo
	v_cmp_eq_u32_e32 vcc_lo, 0x40f, v10
	s_delay_alu instid0(VALU_DEP_2)
	v_and_or_b32 v2, 0x8000, v5, v2
	s_wait_alu 0xfffd
	v_cndmask_b32_e32 v4, v4, v6, vcc_lo
	v_add_co_u32 v0, vcc_lo, v0, s4
	s_wait_alu 0xfffd
	v_add_co_ci_u32_e32 v1, vcc_lo, s5, v1, vcc_lo
	s_delay_alu instid0(VALU_DEP_3) | instskip(SKIP_1) | instid1(VALU_DEP_1)
	v_and_or_b32 v4, 0x8000, v7, v4
	v_and_b32_e32 v2, 0xffff, v2
	v_lshl_or_b32 v2, v4, 16, v2
	v_lshrrev_b32_e32 v4, 16, v3
	global_store_b32 v[0:1], v2, off
	global_load_b32 v2, v32, s[8:9] offset:3456
	s_wait_loadcnt 0x0
	v_lshrrev_b32_e32 v5, 16, v2
	s_delay_alu instid0(VALU_DEP_1) | instskip(SKIP_1) | instid1(VALU_DEP_2)
	v_mul_f16_e32 v6, v4, v5
	v_mul_f16_e32 v5, v3, v5
	v_fmac_f16_e32 v6, v3, v2
	s_delay_alu instid0(VALU_DEP_2) | instskip(NEXT) | instid1(VALU_DEP_2)
	v_fma_f16 v2, v2, v4, -v5
	v_cvt_f32_f16_e32 v3, v6
	s_delay_alu instid0(VALU_DEP_2) | instskip(NEXT) | instid1(VALU_DEP_2)
	v_cvt_f32_f16_e32 v4, v2
	v_cvt_f64_f32_e32 v[2:3], v3
	s_delay_alu instid0(VALU_DEP_2) | instskip(NEXT) | instid1(VALU_DEP_2)
	v_cvt_f64_f32_e32 v[4:5], v4
	v_mul_f64_e32 v[2:3], s[10:11], v[2:3]
	s_delay_alu instid0(VALU_DEP_2) | instskip(NEXT) | instid1(VALU_DEP_2)
	v_mul_f64_e32 v[4:5], s[10:11], v[4:5]
	v_and_or_b32 v2, 0x1ff, v3, v2
	s_delay_alu instid0(VALU_DEP_2)
	v_and_or_b32 v4, 0x1ff, v5, v4
	v_lshrrev_b32_e32 v6, 8, v3
	v_bfe_u32 v7, v3, 20, 11
	v_lshrrev_b32_e32 v8, 8, v5
	v_cmp_ne_u32_e32 vcc_lo, 0, v2
	v_bfe_u32 v9, v5, 20, 11
	v_lshrrev_b32_e32 v3, 16, v3
	v_sub_nc_u32_e32 v10, 0x3f1, v7
	v_add_nc_u32_e32 v7, 0xfffffc10, v7
	s_wait_alu 0xfffd
	v_cndmask_b32_e64 v2, 0, 1, vcc_lo
	v_cmp_ne_u32_e32 vcc_lo, 0, v4
	v_lshrrev_b32_e32 v5, 16, v5
	s_delay_alu instid0(VALU_DEP_3) | instskip(SKIP_3) | instid1(VALU_DEP_2)
	v_and_or_b32 v2, 0xffe, v6, v2
	s_wait_alu 0xfffd
	v_cndmask_b32_e64 v4, 0, 1, vcc_lo
	v_sub_nc_u32_e32 v6, 0x3f1, v9
	v_and_or_b32 v4, 0xffe, v8, v4
	v_med3_i32 v8, v10, 0, 13
	v_or_b32_e32 v10, 0x1000, v2
	s_delay_alu instid0(VALU_DEP_4) | instskip(NEXT) | instid1(VALU_DEP_4)
	v_med3_i32 v6, v6, 0, 13
	v_or_b32_e32 v11, 0x1000, v4
	s_delay_alu instid0(VALU_DEP_3) | instskip(NEXT) | instid1(VALU_DEP_2)
	v_lshrrev_b32_e32 v12, v8, v10
	v_lshrrev_b32_e32 v13, v6, v11
	s_delay_alu instid0(VALU_DEP_2) | instskip(NEXT) | instid1(VALU_DEP_2)
	v_lshlrev_b32_e32 v8, v8, v12
	v_lshlrev_b32_e32 v6, v6, v13
	s_delay_alu instid0(VALU_DEP_2) | instskip(SKIP_4) | instid1(VALU_DEP_2)
	v_cmp_ne_u32_e32 vcc_lo, v8, v10
	v_lshl_or_b32 v10, v7, 12, v2
	s_wait_alu 0xfffd
	v_cndmask_b32_e64 v8, 0, 1, vcc_lo
	v_cmp_ne_u32_e32 vcc_lo, v6, v11
	v_or_b32_e32 v8, v12, v8
	s_wait_alu 0xfffd
	v_cndmask_b32_e64 v6, 0, 1, vcc_lo
	v_cmp_gt_i32_e32 vcc_lo, 1, v7
	v_add_nc_u32_e32 v9, 0xfffffc10, v9
	s_delay_alu instid0(VALU_DEP_3) | instskip(SKIP_2) | instid1(VALU_DEP_3)
	v_or_b32_e32 v6, v13, v6
	s_wait_alu 0xfffd
	v_cndmask_b32_e32 v8, v10, v8, vcc_lo
	v_lshl_or_b32 v11, v9, 12, v4
	v_cmp_gt_i32_e32 vcc_lo, 1, v9
	s_delay_alu instid0(VALU_DEP_3)
	v_and_b32_e32 v10, 7, v8
	v_lshrrev_b32_e32 v8, 2, v8
	s_wait_alu 0xfffd
	v_cndmask_b32_e32 v6, v11, v6, vcc_lo
	v_cmp_ne_u32_e32 vcc_lo, 0, v2
	v_cmp_eq_u32_e64 s0, 3, v10
	s_wait_alu 0xfffd
	v_cndmask_b32_e64 v2, 0, 1, vcc_lo
	v_cmp_ne_u32_e32 vcc_lo, 0, v4
	s_delay_alu instid0(VALU_DEP_2) | instskip(SKIP_3) | instid1(VALU_DEP_2)
	v_lshl_or_b32 v2, v2, 9, 0x7c00
	s_wait_alu 0xfffd
	v_cndmask_b32_e64 v4, 0, 1, vcc_lo
	v_cmp_lt_i32_e32 vcc_lo, 5, v10
	v_lshl_or_b32 v4, v4, 9, 0x7c00
	s_or_b32 vcc_lo, s0, vcc_lo
	s_wait_alu 0xfffe
	v_add_co_ci_u32_e32 v8, vcc_lo, 0, v8, vcc_lo
	v_and_b32_e32 v11, 7, v6
	v_lshrrev_b32_e32 v6, 2, v6
	s_delay_alu instid0(VALU_DEP_2) | instskip(SKIP_1) | instid1(VALU_DEP_1)
	v_cmp_lt_i32_e64 s1, 5, v11
	v_cmp_eq_u32_e64 s2, 3, v11
	s_or_b32 vcc_lo, s2, s1
	s_wait_alu 0xfffe
	v_add_co_ci_u32_e32 v6, vcc_lo, 0, v6, vcc_lo
	v_cmp_gt_i32_e32 vcc_lo, 31, v7
	s_wait_alu 0xfffd
	v_cndmask_b32_e32 v8, 0x7c00, v8, vcc_lo
	v_cmp_gt_i32_e32 vcc_lo, 31, v9
	s_wait_alu 0xfffd
	v_cndmask_b32_e32 v6, 0x7c00, v6, vcc_lo
	v_cmp_eq_u32_e32 vcc_lo, 0x40f, v7
	s_wait_alu 0xfffd
	v_cndmask_b32_e32 v2, v8, v2, vcc_lo
	v_cmp_eq_u32_e32 vcc_lo, 0x40f, v9
	s_delay_alu instid0(VALU_DEP_2)
	v_and_or_b32 v2, 0x8000, v3, v2
	s_wait_alu 0xfffd
	v_cndmask_b32_e32 v4, v6, v4, vcc_lo
	v_add_co_u32 v0, vcc_lo, v0, s4
	s_wait_alu 0xfffd
	v_add_co_ci_u32_e32 v1, vcc_lo, s5, v1, vcc_lo
	s_delay_alu instid0(VALU_DEP_3) | instskip(SKIP_1) | instid1(VALU_DEP_1)
	v_and_or_b32 v3, 0x8000, v5, v4
	v_and_b32_e32 v2, 0xffff, v2
	v_lshl_or_b32 v2, v3, 16, v2
	global_store_b32 v[0:1], v2, off
.LBB0_23:
	s_nop 0
	s_sendmsg sendmsg(MSG_DEALLOC_VGPRS)
	s_endpgm
	.section	.rodata,"a",@progbits
	.p2align	6, 0x0
	.amdhsa_kernel bluestein_single_back_len918_dim1_half_op_CI_CI
		.amdhsa_group_segment_fixed_size 3672
		.amdhsa_private_segment_fixed_size 0
		.amdhsa_kernarg_size 104
		.amdhsa_user_sgpr_count 2
		.amdhsa_user_sgpr_dispatch_ptr 0
		.amdhsa_user_sgpr_queue_ptr 0
		.amdhsa_user_sgpr_kernarg_segment_ptr 1
		.amdhsa_user_sgpr_dispatch_id 0
		.amdhsa_user_sgpr_private_segment_size 0
		.amdhsa_wavefront_size32 1
		.amdhsa_uses_dynamic_stack 0
		.amdhsa_enable_private_segment 0
		.amdhsa_system_sgpr_workgroup_id_x 1
		.amdhsa_system_sgpr_workgroup_id_y 0
		.amdhsa_system_sgpr_workgroup_id_z 0
		.amdhsa_system_sgpr_workgroup_info 0
		.amdhsa_system_vgpr_workitem_id 0
		.amdhsa_next_free_vgpr 229
		.amdhsa_next_free_sgpr 14
		.amdhsa_reserve_vcc 1
		.amdhsa_float_round_mode_32 0
		.amdhsa_float_round_mode_16_64 0
		.amdhsa_float_denorm_mode_32 3
		.amdhsa_float_denorm_mode_16_64 3
		.amdhsa_fp16_overflow 0
		.amdhsa_workgroup_processor_mode 1
		.amdhsa_memory_ordered 1
		.amdhsa_forward_progress 0
		.amdhsa_round_robin_scheduling 0
		.amdhsa_exception_fp_ieee_invalid_op 0
		.amdhsa_exception_fp_denorm_src 0
		.amdhsa_exception_fp_ieee_div_zero 0
		.amdhsa_exception_fp_ieee_overflow 0
		.amdhsa_exception_fp_ieee_underflow 0
		.amdhsa_exception_fp_ieee_inexact 0
		.amdhsa_exception_int_div_zero 0
	.end_amdhsa_kernel
	.text
.Lfunc_end0:
	.size	bluestein_single_back_len918_dim1_half_op_CI_CI, .Lfunc_end0-bluestein_single_back_len918_dim1_half_op_CI_CI
                                        ; -- End function
	.section	.AMDGPU.csdata,"",@progbits
; Kernel info:
; codeLenInByte = 33436
; NumSgprs: 16
; NumVgprs: 229
; ScratchSize: 0
; MemoryBound: 0
; FloatMode: 240
; IeeeMode: 1
; LDSByteSize: 3672 bytes/workgroup (compile time only)
; SGPRBlocks: 1
; VGPRBlocks: 28
; NumSGPRsForWavesPerEU: 16
; NumVGPRsForWavesPerEU: 229
; Occupancy: 6
; WaveLimiterHint : 1
; COMPUTE_PGM_RSRC2:SCRATCH_EN: 0
; COMPUTE_PGM_RSRC2:USER_SGPR: 2
; COMPUTE_PGM_RSRC2:TRAP_HANDLER: 0
; COMPUTE_PGM_RSRC2:TGID_X_EN: 1
; COMPUTE_PGM_RSRC2:TGID_Y_EN: 0
; COMPUTE_PGM_RSRC2:TGID_Z_EN: 0
; COMPUTE_PGM_RSRC2:TIDIG_COMP_CNT: 0
	.text
	.p2alignl 7, 3214868480
	.fill 96, 4, 3214868480
	.type	__hip_cuid_a6021c27050ed80d,@object ; @__hip_cuid_a6021c27050ed80d
	.section	.bss,"aw",@nobits
	.globl	__hip_cuid_a6021c27050ed80d
__hip_cuid_a6021c27050ed80d:
	.byte	0                               ; 0x0
	.size	__hip_cuid_a6021c27050ed80d, 1

	.ident	"AMD clang version 19.0.0git (https://github.com/RadeonOpenCompute/llvm-project roc-6.4.0 25133 c7fe45cf4b819c5991fe208aaa96edf142730f1d)"
	.section	".note.GNU-stack","",@progbits
	.addrsig
	.addrsig_sym __hip_cuid_a6021c27050ed80d
	.amdgpu_metadata
---
amdhsa.kernels:
  - .args:
      - .actual_access:  read_only
        .address_space:  global
        .offset:         0
        .size:           8
        .value_kind:     global_buffer
      - .actual_access:  read_only
        .address_space:  global
        .offset:         8
        .size:           8
        .value_kind:     global_buffer
      - .actual_access:  read_only
        .address_space:  global
        .offset:         16
        .size:           8
        .value_kind:     global_buffer
      - .actual_access:  read_only
        .address_space:  global
        .offset:         24
        .size:           8
        .value_kind:     global_buffer
      - .actual_access:  read_only
        .address_space:  global
        .offset:         32
        .size:           8
        .value_kind:     global_buffer
      - .offset:         40
        .size:           8
        .value_kind:     by_value
      - .address_space:  global
        .offset:         48
        .size:           8
        .value_kind:     global_buffer
      - .address_space:  global
        .offset:         56
        .size:           8
        .value_kind:     global_buffer
      - .address_space:  global
        .offset:         64
        .size:           8
        .value_kind:     global_buffer
      - .address_space:  global
        .offset:         72
        .size:           8
        .value_kind:     global_buffer
      - .offset:         80
        .size:           4
        .value_kind:     by_value
      - .address_space:  global
        .offset:         88
        .size:           8
        .value_kind:     global_buffer
      - .address_space:  global
        .offset:         96
        .size:           8
        .value_kind:     global_buffer
    .group_segment_fixed_size: 3672
    .kernarg_segment_align: 8
    .kernarg_segment_size: 104
    .language:       OpenCL C
    .language_version:
      - 2
      - 0
    .max_flat_workgroup_size: 102
    .name:           bluestein_single_back_len918_dim1_half_op_CI_CI
    .private_segment_fixed_size: 0
    .sgpr_count:     16
    .sgpr_spill_count: 0
    .symbol:         bluestein_single_back_len918_dim1_half_op_CI_CI.kd
    .uniform_work_group_size: 1
    .uses_dynamic_stack: false
    .vgpr_count:     229
    .vgpr_spill_count: 0
    .wavefront_size: 32
    .workgroup_processor_mode: 1
amdhsa.target:   amdgcn-amd-amdhsa--gfx1201
amdhsa.version:
  - 1
  - 2
...

	.end_amdgpu_metadata
